;; amdgpu-corpus repo=ROCm/flash-attention kind=compiled arch=gfx90a opt=O3
	.text
	.amdgcn_target "amdgcn-amd-amdhsa--gfx90a"
	.amdhsa_code_object_version 6
	.section	.text._ZN7ck_tileL11flush_cacheEv,"axG",@progbits,_ZN7ck_tileL11flush_cacheEv,comdat
	.globl	_ZN7ck_tileL11flush_cacheEv     ; -- Begin function _ZN7ck_tileL11flush_cacheEv
	.p2align	8
	.type	_ZN7ck_tileL11flush_cacheEv,@function
_ZN7ck_tileL11flush_cacheEv:            ; @_ZN7ck_tileL11flush_cacheEv
; %bb.0:
	;;#ASMSTART
	s_icache_inv 
	s_nop 0 
	s_nop 0 
	;; [unrolled: 1-line block ×16, first 2 shown]
	
	;;#ASMEND
	s_endpgm
	.section	.rodata,"a",@progbits
	.p2align	6, 0x0
	.amdhsa_kernel _ZN7ck_tileL11flush_cacheEv
		.amdhsa_group_segment_fixed_size 0
		.amdhsa_private_segment_fixed_size 0
		.amdhsa_kernarg_size 0
		.amdhsa_user_sgpr_count 4
		.amdhsa_user_sgpr_private_segment_buffer 1
		.amdhsa_user_sgpr_dispatch_ptr 0
		.amdhsa_user_sgpr_queue_ptr 0
		.amdhsa_user_sgpr_kernarg_segment_ptr 0
		.amdhsa_user_sgpr_dispatch_id 0
		.amdhsa_user_sgpr_flat_scratch_init 0
		.amdhsa_user_sgpr_kernarg_preload_length 0
		.amdhsa_user_sgpr_kernarg_preload_offset 0
		.amdhsa_user_sgpr_private_segment_size 0
		.amdhsa_uses_dynamic_stack 0
		.amdhsa_system_sgpr_private_segment_wavefront_offset 0
		.amdhsa_system_sgpr_workgroup_id_x 1
		.amdhsa_system_sgpr_workgroup_id_y 0
		.amdhsa_system_sgpr_workgroup_id_z 0
		.amdhsa_system_sgpr_workgroup_info 0
		.amdhsa_system_vgpr_workitem_id 0
		.amdhsa_next_free_vgpr 1
		.amdhsa_next_free_sgpr 0
		.amdhsa_accum_offset 4
		.amdhsa_reserve_vcc 0
		.amdhsa_reserve_flat_scratch 0
		.amdhsa_float_round_mode_32 0
		.amdhsa_float_round_mode_16_64 0
		.amdhsa_float_denorm_mode_32 0
		.amdhsa_float_denorm_mode_16_64 3
		.amdhsa_dx10_clamp 1
		.amdhsa_ieee_mode 1
		.amdhsa_fp16_overflow 0
		.amdhsa_tg_split 0
		.amdhsa_exception_fp_ieee_invalid_op 0
		.amdhsa_exception_fp_denorm_src 0
		.amdhsa_exception_fp_ieee_div_zero 0
		.amdhsa_exception_fp_ieee_overflow 0
		.amdhsa_exception_fp_ieee_underflow 0
		.amdhsa_exception_fp_ieee_inexact 0
		.amdhsa_exception_int_div_zero 0
	.end_amdhsa_kernel
	.section	.text._ZN7ck_tileL11flush_cacheEv,"axG",@progbits,_ZN7ck_tileL11flush_cacheEv,comdat
.Lfunc_end0:
	.size	_ZN7ck_tileL11flush_cacheEv, .Lfunc_end0-_ZN7ck_tileL11flush_cacheEv
                                        ; -- End function
	.section	.AMDGPU.csdata,"",@progbits
; Kernel info:
; codeLenInByte = 140
; NumSgprs: 4
; NumVgprs: 0
; NumAgprs: 0
; TotalNumVgprs: 0
; ScratchSize: 0
; MemoryBound: 0
; FloatMode: 192
; IeeeMode: 1
; LDSByteSize: 0 bytes/workgroup (compile time only)
; SGPRBlocks: 0
; VGPRBlocks: 0
; NumSGPRsForWavesPerEU: 4
; NumVGPRsForWavesPerEU: 1
; AccumOffset: 4
; Occupancy: 8
; WaveLimiterHint : 0
; COMPUTE_PGM_RSRC2:SCRATCH_EN: 0
; COMPUTE_PGM_RSRC2:USER_SGPR: 4
; COMPUTE_PGM_RSRC2:TRAP_HANDLER: 0
; COMPUTE_PGM_RSRC2:TGID_X_EN: 1
; COMPUTE_PGM_RSRC2:TGID_Y_EN: 0
; COMPUTE_PGM_RSRC2:TGID_Z_EN: 0
; COMPUTE_PGM_RSRC2:TIDIG_COMP_CNT: 0
; COMPUTE_PGM_RSRC3_GFX90A:ACCUM_OFFSET: 0
; COMPUTE_PGM_RSRC3_GFX90A:TG_SPLIT: 0
	.text
	.p2align	2                               ; -- Begin function _ZNK7ck_tile13FmhaFwdKernelINS_28BlockFmhaPipelineQRKSVSAsyncINS_24BlockFmhaPipelineProblemIDF16_DF16_DF16_ffDF16_hfDF16_fDF16_NS_13TileFmhaShapeINS_8sequenceIJLi128ELi128ELi32ELi128ELi32ELi128EEEENS4_IJLi4ELi1ELi1EEEENS4_IJLi32ELi32ELi16EEEES6_S7_Lb1EEELb0ENS_17ComposedAttentionILj4ELb1EEENS_30SimplifiedGenericAttentionMaskILb1EEELb0ENS_14TileFmhaTraitsILb1ELb0ELb1ELb1ELb1ELNS_22BlockAttentionBiasEnumE0ELb0ELb1ELb1ELNS_28BlockAttentionQuantScaleEnumE0ELin1ELb0ELb0EEEEENS_35BlockFmhaPipelineQXKSVSCustomPolicyILb1ELb1ELi3ELi3EEEEENS_17Default2DEpilogueINS_24Default2DEpilogueProblemIfDF16_Lb1ELb1ELb1EEEvEEE4run_ENSP_21FmhaFwdBatchModeKargsE
	.type	_ZNK7ck_tile13FmhaFwdKernelINS_28BlockFmhaPipelineQRKSVSAsyncINS_24BlockFmhaPipelineProblemIDF16_DF16_DF16_ffDF16_hfDF16_fDF16_NS_13TileFmhaShapeINS_8sequenceIJLi128ELi128ELi32ELi128ELi32ELi128EEEENS4_IJLi4ELi1ELi1EEEENS4_IJLi32ELi32ELi16EEEES6_S7_Lb1EEELb0ENS_17ComposedAttentionILj4ELb1EEENS_30SimplifiedGenericAttentionMaskILb1EEELb0ENS_14TileFmhaTraitsILb1ELb0ELb1ELb1ELb1ELNS_22BlockAttentionBiasEnumE0ELb0ELb1ELb1ELNS_28BlockAttentionQuantScaleEnumE0ELin1ELb0ELb0EEEEENS_35BlockFmhaPipelineQXKSVSCustomPolicyILb1ELb1ELi3ELi3EEEEENS_17Default2DEpilogueINS_24Default2DEpilogueProblemIfDF16_Lb1ELb1ELb1EEEvEEE4run_ENSP_21FmhaFwdBatchModeKargsE,@function
_ZNK7ck_tile13FmhaFwdKernelINS_28BlockFmhaPipelineQRKSVSAsyncINS_24BlockFmhaPipelineProblemIDF16_DF16_DF16_ffDF16_hfDF16_fDF16_NS_13TileFmhaShapeINS_8sequenceIJLi128ELi128ELi32ELi128ELi32ELi128EEEENS4_IJLi4ELi1ELi1EEEENS4_IJLi32ELi32ELi16EEEES6_S7_Lb1EEELb0ENS_17ComposedAttentionILj4ELb1EEENS_30SimplifiedGenericAttentionMaskILb1EEELb0ENS_14TileFmhaTraitsILb1ELb0ELb1ELb1ELb1ELNS_22BlockAttentionBiasEnumE0ELb0ELb1ELb1ELNS_28BlockAttentionQuantScaleEnumE0ELin1ELb0ELb0EEEEENS_35BlockFmhaPipelineQXKSVSCustomPolicyILb1ELb1ELi3ELi3EEEEENS_17Default2DEpilogueINS_24Default2DEpilogueProblemIfDF16_Lb1ELb1ELb1EEEvEEE4run_ENSP_21FmhaFwdBatchModeKargsE: ; @_ZNK7ck_tile13FmhaFwdKernelINS_28BlockFmhaPipelineQRKSVSAsyncINS_24BlockFmhaPipelineProblemIDF16_DF16_DF16_ffDF16_hfDF16_fDF16_NS_13TileFmhaShapeINS_8sequenceIJLi128ELi128ELi32ELi128ELi32ELi128EEEENS4_IJLi4ELi1ELi1EEEENS4_IJLi32ELi32ELi16EEEES6_S7_Lb1EEELb0ENS_17ComposedAttentionILj4ELb1EEENS_30SimplifiedGenericAttentionMaskILb1EEELb0ENS_14TileFmhaTraitsILb1ELb0ELb1ELb1ELb1ELNS_22BlockAttentionBiasEnumE0ELb0ELb1ELb1ELNS_28BlockAttentionQuantScaleEnumE0ELin1ELb0ELb0EEEEENS_35BlockFmhaPipelineQXKSVSCustomPolicyILb1ELb1ELi3ELi3EEEEENS_17Default2DEpilogueINS_24Default2DEpilogueProblemIfDF16_Lb1ELb1ELb1EEEvEEE4run_ENSP_21FmhaFwdBatchModeKargsE
; %bb.0:
	s_waitcnt vmcnt(0) expcnt(0) lgkmcnt(0)
	s_or_saveexec_b64 s[4:5], -1
	buffer_store_dword v127, off, s[0:3], s32 offset:1632 ; 4-byte Folded Spill
	s_mov_b64 exec, s[4:5]
	buffer_store_dword v40, off, s[0:3], s32 offset:676 ; 4-byte Folded Spill
	buffer_store_dword v41, off, s[0:3], s32 offset:672 ; 4-byte Folded Spill
	;; [unrolled: 1-line block ×143, first 2 shown]
	v_writelane_b32 v127, s34, 0
	v_writelane_b32 v127, s35, 1
	;; [unrolled: 1-line block ×19, first 2 shown]
	buffer_store_dword v24, off, s[0:3], s32 offset:1596 ; 4-byte Folded Spill
	buffer_store_dword v20, off, s[0:3], s32 offset:1592 ; 4-byte Folded Spill
	;; [unrolled: 1-line block ×5, first 2 shown]
	v_accvgpr_write_b32 a92, v10
	buffer_load_dword v119, off, s[0:3], s32 offset:52
	buffer_load_dword v118, off, s[0:3], s32 offset:48
	;; [unrolled: 1-line block ×7, first 2 shown]
	buffer_load_dword v29, off, s[0:3], s32
	buffer_load_dword v33, off, s[0:3], s32 offset:104
	buffer_load_dword v32, off, s[0:3], s32 offset:100
	;; [unrolled: 1-line block ×9, first 2 shown]
	v_add_u32_e32 v48, 0x7f, v13
	v_ashrrev_i32_e32 v52, 31, v48
	v_lshrrev_b32_e32 v52, 25, v52
	v_add_u32_e32 v48, v48, v52
	v_ashrrev_i32_e32 v48, 7, v48
	v_sub_u32_e32 v52, 0, v48
	v_max_i32_e32 v52, v48, v52
	v_cvt_f32_u32_e32 v54, v52
	v_sub_u32_e32 v55, 0, v52
	s_abs_i32 s4, s13
	v_xor_b32_e32 v65, s13, v48
	v_rcp_iflag_f32_e32 v54, v54
	v_ashrrev_i32_e32 v65, 31, v65
	v_mul_f32_e32 v54, 0x4f7ffffe, v54
	v_cvt_u32_f32_e32 v54, v54
	v_mul_lo_u32 v55, v55, v54
	v_mul_hi_u32 v55, v54, v55
	v_add_u32_e32 v54, v54, v55
	v_mul_hi_u32 v54, s4, v54
	v_mul_lo_u32 v55, v54, v52
	v_sub_u32_e32 v55, s4, v55
	v_add_u32_e32 v64, 1, v54
	v_cmp_ge_u32_e32 vcc, v55, v52
	v_cndmask_b32_e32 v54, v54, v64, vcc
	v_sub_u32_e32 v64, v55, v52
	v_cndmask_b32_e32 v55, v55, v64, vcc
	v_add_u32_e32 v64, 1, v54
	v_cmp_ge_u32_e32 vcc, v55, v52
	v_cndmask_b32_e32 v52, v54, v64, vcc
	v_xor_b32_e32 v52, v52, v65
	v_sub_u32_e32 v52, v52, v65
	v_mul_lo_u32 v48, v52, v48
	v_not_b32_e32 v52, v52
	v_sub_u32_e32 v48, s13, v48
	v_lshlrev_b32_e32 v48, 7, v48
	v_readfirstlane_b32 s24, v48
	v_mov_b32_e32 v48, 0xff800000
	s_waitcnt vmcnt(0)
	buffer_store_dword v10, off, s[0:3], s32 offset:1092 ; 4-byte Folded Spill
	buffer_load_ubyte v18, off, s[0:3], s32 offset:44
	buffer_load_ubyte v126, off, s[0:3], s32 offset:40
	buffer_load_dword v90, off, s[0:3], s32 offset:36
	buffer_load_ubyte v36, off, s[0:3], s32 offset:32
	buffer_load_dword v53, off, s[0:3], s32 offset:12
	buffer_load_dword v39, off, s[0:3], s32 offset:8
	s_nop 0
	buffer_load_dword v10, off, s[0:3], s32 offset:88
	s_waitcnt vmcnt(0)
	buffer_store_dword v10, off, s[0:3], s32 offset:1608 ; 4-byte Folded Spill
	buffer_load_dword v51, off, s[0:3], s32 offset:84
	buffer_load_dword v50, off, s[0:3], s32 offset:80
	;; [unrolled: 1-line block ×3, first 2 shown]
	s_nop 0
	buffer_store_dword v13, off, s[0:3], s32 offset:1580 ; 4-byte Folded Spill
	s_load_dword s4, s[8:9], 0x4
	s_load_dword s5, s[8:9], 0x14
	s_waitcnt lgkmcnt(0)
	v_mov_b32_e32 v54, s4
	v_cmp_ne_u16_e64 vcc, s5, 0
	v_addc_co_u32_e32 v52, vcc, v52, v54, vcc
	v_lshlrev_b32_e32 v52, 7, v52
	v_readfirstlane_b32 s22, v52
	v_cmp_ne_u64_e32 vcc, 0, v[8:9]
	s_and_saveexec_b64 s[4:5], vcc
	s_cbranch_execz .LBB1_2
; %bb.1:
	s_ashr_i32 s13, s12, 31
	s_lshl_b64 s[6:7], s[12:13], 2
	v_mov_b32_e32 v48, s7
	v_add_co_u32_e32 v8, vcc, s6, v8
	v_addc_co_u32_e32 v9, vcc, v9, v48, vcc
	flat_load_dword v8, v[8:9]
	s_waitcnt vmcnt(0) lgkmcnt(0)
	v_div_scale_f32 v9, s[6:7], v16, v16, v8
	v_rcp_f32_e32 v48, v9
	v_div_scale_f32 v52, vcc, v8, v16, v8
	s_setreg_imm32_b32 hwreg(HW_REG_MODE, 4, 2), 3
	v_fma_f32 v54, -v9, v48, 1.0
	v_fmac_f32_e32 v48, v54, v48
	v_mul_f32_e32 v54, v52, v48
	v_fma_f32 v55, -v9, v54, v52
	v_fmac_f32_e32 v54, v55, v48
	v_fma_f32 v9, -v9, v54, v52
	s_setreg_imm32_b32 hwreg(HW_REG_MODE, 4, 2), 0
	v_div_fmas_f32 v9, v9, v48, v54
	v_div_fixup_f32 v48, v9, v16, v8
.LBB1_2:
	s_or_b64 exec, exec, s[4:5]
	s_ashr_i32 s15, s14, 31
	v_cmp_ne_u64_e32 vcc, 0, v[34:35]
	s_and_saveexec_b64 s[4:5], vcc
	s_cbranch_execz .LBB1_4
; %bb.3:
	s_lshl_b64 s[6:7], s[14:15], 2
	v_mov_b32_e32 v9, s7
	v_add_co_u32_e32 v8, vcc, s6, v34
	v_addc_co_u32_e32 v9, vcc, v35, v9, vcc
	flat_load_dwordx2 v[8:9], v[8:9]
	s_waitcnt vmcnt(0) lgkmcnt(0)
	v_sub_u32_e32 v8, v9, v8
	v_accvgpr_write_b32 a92, v8
.LBB1_4:
	s_or_b64 exec, exec, s[4:5]
	v_cmp_ne_u64_e32 vcc, 0, v[32:33]
	s_and_saveexec_b64 s[4:5], vcc
	s_cbranch_execz .LBB1_6
; %bb.5:
	s_lshl_b64 s[6:7], s[14:15], 2
	v_mov_b32_e32 v9, s7
	v_add_co_u32_e32 v8, vcc, s6, v32
	v_addc_co_u32_e32 v9, vcc, v33, v9, vcc
	flat_load_dwordx2 v[8:9], v[8:9]
	s_waitcnt vmcnt(0) lgkmcnt(0)
	v_sub_u32_e32 v11, v9, v8
.LBB1_6:
	s_or_b64 exec, exec, s[4:5]
	v_sub_u32_e32 v8, 0, v15
	v_max_i32_e32 v54, v15, v8
	v_cvt_f32_u32_e32 v8, v54
	v_rcp_iflag_f32_e32 v8, v8
	v_mul_f32_e32 v8, 0x4f7ffffe, v8
	v_cvt_u32_f32_e32 v55, v8
	v_and_b32_e32 v8, 1, v36
	v_cmp_eq_u32_e32 vcc, 1, v8
	s_xor_b64 s[4:5], vcc, -1
	s_and_saveexec_b64 s[6:7], s[4:5]
	s_cbranch_execz .LBB1_8
; %bb.7:
	flat_load_dwordx2 v[66:67], v[66:67]
.LBB1_8:
	s_or_b64 exec, exec, s[6:7]
	s_and_saveexec_b64 s[6:7], s[4:5]
	s_cbranch_execz .LBB1_10
; %bb.9:
	flat_load_dwordx2 v[6:7], v[6:7]
.LBB1_10:
	s_or_b64 exec, exec, s[6:7]
	v_mad_i64_i32 v[32:33], s[4:5], v21, s12, 0
	v_lshlrev_b64 v[32:33], 1, v[32:33]
	v_add_co_u32_e32 v21, vcc, v0, v32
	v_addc_co_u32_e32 v33, vcc, v1, v33, vcc
	v_add_co_u32_e64 v0, vcc, 0, 0
	s_waitcnt vmcnt(0)
	v_mad_i64_i32 v[8:9], s[4:5], v37, s14, 0
	v_addc_co_u32_e64 v0, s[4:5], -1, v12, vcc
	v_add_co_u32_e64 v52, s[4:5], 1, v0
	v_lshlrev_b64 v[0:1], 1, v[8:9]
	v_add_co_u32_e64 v32, s[4:5], v21, v0
	v_addc_co_u32_e64 v33, s[4:5], v33, v1, s[4:5]
	v_cmp_lt_i32_e64 s[4:5], 0, v25
	v_cndmask_b32_e64 v0, v14, v25, s[4:5]
	v_add_u32_e32 v1, s12, v26
	v_mul_lo_u32 v0, v0, s14
	v_add_lshl_u32 v0, v1, v0, 6
	v_ashrrev_i32_e32 v1, 31, v0
	s_waitcnt lgkmcnt(0)
	v_add_co_u32_e64 v0, s[4:5], v6, v0
	v_readfirstlane_b32 s23, v0
	v_and_b32_e32 v0, 0x3c0, v31
	v_addc_co_u32_e64 v1, s[4:5], v7, v1, s[4:5]
	v_lshrrev_b32_e32 v0, 6, v0
	buffer_store_dword v0, off, s[0:3], s32 offset:1072 ; 4-byte Folded Spill
	v_readfirstlane_b32 s4, v0
	v_mbcnt_lo_u32_b32 v0, -1, 0
	v_readfirstlane_b32 s31, v1
	v_mbcnt_hi_u32_b32 v1, -1, v0
	v_and_b32_e32 v8, 31, v1
	v_lshrrev_b32_e32 v6, 5, v1
	v_add_u32_e32 v7, s22, v8
	v_accvgpr_read_b32 v13, a92
	v_lshlrev_b32_e32 v0, 3, v6
	buffer_store_dword v7, off, s[0:3], s32 offset:1080 ; 4-byte Folded Spill
	v_lshl_add_u32 v7, s4, 5, v7
	v_add_u32_e32 v113, -1, v13
	v_mad_u64_u32 v[36:37], s[4:5], v7, v17, v[0:1]
	v_mul_lo_u32 v34, v17, v113
	v_cmp_gt_i32_e64 s[6:7], v12, v0
	v_cmp_gt_i32_e64 s[4:5], v13, v7
	v_readfirstlane_b32 s13, v66
	v_readfirstlane_b32 s15, v67
	v_add_lshl_u32 v9, v34, v52, 1
	s_and_b64 s[6:7], s[4:5], s[6:7]
	v_lshlrev_b32_e32 v7, 1, v36
	v_mov_b32_e32 v34, 0
	v_mov_b32_e32 v35, 0
	;; [unrolled: 1-line block ×4, first 2 shown]
	buffer_store_dword v34, off, s[0:3], s32 offset:1336 ; 4-byte Folded Spill
	s_nop 0
	buffer_store_dword v35, off, s[0:3], s32 offset:1340 ; 4-byte Folded Spill
	buffer_store_dword v36, off, s[0:3], s32 offset:1344 ; 4-byte Folded Spill
	;; [unrolled: 1-line block ×3, first 2 shown]
	s_and_saveexec_b64 s[10:11], s[6:7]
	s_cbranch_execz .LBB1_14
; %bb.11:
	s_mov_b32 s6, 0x3020104
	v_perm_b32 v36, v9, v9, s6
	v_mov_b32_e32 v37, 0x20000
	s_mov_b64 s[20:21], exec
.LBB1_12:                               ; =>This Inner Loop Header: Depth=1
	v_readfirstlane_b32 s16, v32
	v_readfirstlane_b32 s17, v33
	;; [unrolled: 1-line block ×4, first 2 shown]
	v_cmp_eq_u64_e64 s[6:7], s[16:17], v[32:33]
	v_cmp_eq_u64_e64 s[8:9], s[18:19], v[36:37]
	s_and_b64 s[6:7], s[6:7], s[8:9]
	s_and_saveexec_b64 s[6:7], s[6:7]
	s_nop 0
	buffer_load_dwordx4 v[34:37], v7, s[16:19], 0 offen
	s_waitcnt vmcnt(0)
	buffer_store_dword v34, off, s[0:3], s32 offset:1336 ; 4-byte Folded Spill
	s_nop 0
	buffer_store_dword v35, off, s[0:3], s32 offset:1340 ; 4-byte Folded Spill
	buffer_store_dword v36, off, s[0:3], s32 offset:1344 ; 4-byte Folded Spill
	;; [unrolled: 1-line block ×3, first 2 shown]
                                        ; implicit-def: $vgpr34_vgpr35_vgpr36_vgpr37
	s_xor_b64 exec, exec, s[6:7]
	s_cbranch_execnz .LBB1_12
; %bb.13:
	s_mov_b64 exec, s[20:21]
.LBB1_14:
	s_or_b64 exec, exec, s[10:11]
	v_add_u32_e32 v10, 16, v0
	v_cmp_gt_i32_e64 s[6:7], v12, v10
	s_and_b64 s[6:7], s[4:5], s[6:7]
	v_mov_b32_e32 v34, 0
	v_mov_b32_e32 v35, 0
	;; [unrolled: 1-line block ×4, first 2 shown]
	;;#ASMSTART
	;;#ASMEND
	buffer_store_dword v34, off, s[0:3], s32 offset:1352 ; 4-byte Folded Spill
	s_nop 0
	buffer_store_dword v35, off, s[0:3], s32 offset:1356 ; 4-byte Folded Spill
	buffer_store_dword v36, off, s[0:3], s32 offset:1360 ; 4-byte Folded Spill
	;; [unrolled: 1-line block ×3, first 2 shown]
	s_and_saveexec_b64 s[10:11], s[6:7]
	s_cbranch_execz .LBB1_18
; %bb.15:
	s_mov_b32 s6, 0x3020104
	v_perm_b32 v36, v9, v9, s6
	v_mov_b32_e32 v37, 0x20000
	s_mov_b64 s[20:21], exec
.LBB1_16:                               ; =>This Inner Loop Header: Depth=1
	v_readfirstlane_b32 s16, v32
	v_readfirstlane_b32 s17, v33
	;; [unrolled: 1-line block ×4, first 2 shown]
	v_cmp_eq_u64_e64 s[6:7], s[16:17], v[32:33]
	v_cmp_eq_u64_e64 s[8:9], s[18:19], v[36:37]
	s_and_b64 s[6:7], s[6:7], s[8:9]
	s_and_saveexec_b64 s[6:7], s[6:7]
	s_nop 0
	buffer_load_dwordx4 v[34:37], v7, s[16:19], 0 offen offset:32
	s_waitcnt vmcnt(0)
	buffer_store_dword v34, off, s[0:3], s32 offset:1352 ; 4-byte Folded Spill
	s_nop 0
	buffer_store_dword v35, off, s[0:3], s32 offset:1356 ; 4-byte Folded Spill
	buffer_store_dword v36, off, s[0:3], s32 offset:1360 ; 4-byte Folded Spill
	;; [unrolled: 1-line block ×3, first 2 shown]
                                        ; implicit-def: $vgpr34_vgpr35_vgpr36_vgpr37
	s_xor_b64 exec, exec, s[6:7]
	s_cbranch_execnz .LBB1_16
; %bb.17:
	s_mov_b64 exec, s[20:21]
.LBB1_18:
	s_or_b64 exec, exec, s[10:11]
	v_or_b32_e32 v10, 32, v0
	v_cmp_gt_i32_e64 s[6:7], v12, v10
	s_and_b64 s[6:7], s[4:5], s[6:7]
	v_mov_b32_e32 v34, 0
	v_mov_b32_e32 v35, 0
	;; [unrolled: 1-line block ×4, first 2 shown]
	;;#ASMSTART
	;;#ASMEND
	buffer_store_dword v34, off, s[0:3], s32 offset:1384 ; 4-byte Folded Spill
	s_nop 0
	buffer_store_dword v35, off, s[0:3], s32 offset:1388 ; 4-byte Folded Spill
	buffer_store_dword v36, off, s[0:3], s32 offset:1392 ; 4-byte Folded Spill
	;; [unrolled: 1-line block ×3, first 2 shown]
	s_and_saveexec_b64 s[10:11], s[6:7]
	s_cbranch_execz .LBB1_22
; %bb.19:
	s_mov_b32 s6, 0x3020104
	v_perm_b32 v36, v9, v9, s6
	v_mov_b32_e32 v37, 0x20000
	s_mov_b64 s[20:21], exec
.LBB1_20:                               ; =>This Inner Loop Header: Depth=1
	v_readfirstlane_b32 s16, v32
	v_readfirstlane_b32 s17, v33
	;; [unrolled: 1-line block ×4, first 2 shown]
	v_cmp_eq_u64_e64 s[6:7], s[16:17], v[32:33]
	v_cmp_eq_u64_e64 s[8:9], s[18:19], v[36:37]
	s_and_b64 s[6:7], s[6:7], s[8:9]
	s_and_saveexec_b64 s[6:7], s[6:7]
	s_nop 0
	buffer_load_dwordx4 v[34:37], v7, s[16:19], 0 offen offset:64
	s_waitcnt vmcnt(0)
	buffer_store_dword v34, off, s[0:3], s32 offset:1384 ; 4-byte Folded Spill
	s_nop 0
	buffer_store_dword v35, off, s[0:3], s32 offset:1388 ; 4-byte Folded Spill
	buffer_store_dword v36, off, s[0:3], s32 offset:1392 ; 4-byte Folded Spill
	;; [unrolled: 1-line block ×3, first 2 shown]
                                        ; implicit-def: $vgpr34_vgpr35_vgpr36_vgpr37
	s_xor_b64 exec, exec, s[6:7]
	s_cbranch_execnz .LBB1_20
; %bb.21:
	s_mov_b64 exec, s[20:21]
.LBB1_22:
	s_or_b64 exec, exec, s[10:11]
	v_add_u32_e32 v10, 48, v0
	v_cmp_gt_i32_e64 s[6:7], v12, v10
	s_and_b64 s[6:7], s[4:5], s[6:7]
	v_mov_b32_e32 v34, 0
	v_mov_b32_e32 v35, 0
	;; [unrolled: 1-line block ×4, first 2 shown]
	;;#ASMSTART
	;;#ASMEND
	buffer_store_dword v34, off, s[0:3], s32 offset:1368 ; 4-byte Folded Spill
	s_nop 0
	buffer_store_dword v35, off, s[0:3], s32 offset:1372 ; 4-byte Folded Spill
	buffer_store_dword v36, off, s[0:3], s32 offset:1376 ; 4-byte Folded Spill
	;; [unrolled: 1-line block ×3, first 2 shown]
	s_and_saveexec_b64 s[10:11], s[6:7]
	s_cbranch_execz .LBB1_26
; %bb.23:
	s_mov_b32 s6, 0x3020104
	v_perm_b32 v36, v9, v9, s6
	v_mov_b32_e32 v37, 0x20000
	s_mov_b64 s[20:21], exec
.LBB1_24:                               ; =>This Inner Loop Header: Depth=1
	v_readfirstlane_b32 s16, v32
	v_readfirstlane_b32 s17, v33
	;; [unrolled: 1-line block ×4, first 2 shown]
	v_cmp_eq_u64_e64 s[6:7], s[16:17], v[32:33]
	v_cmp_eq_u64_e64 s[8:9], s[18:19], v[36:37]
	s_and_b64 s[6:7], s[6:7], s[8:9]
	s_and_saveexec_b64 s[6:7], s[6:7]
	s_nop 0
	buffer_load_dwordx4 v[34:37], v7, s[16:19], 0 offen offset:96
	s_waitcnt vmcnt(0)
	buffer_store_dword v34, off, s[0:3], s32 offset:1368 ; 4-byte Folded Spill
	s_nop 0
	buffer_store_dword v35, off, s[0:3], s32 offset:1372 ; 4-byte Folded Spill
	buffer_store_dword v36, off, s[0:3], s32 offset:1376 ; 4-byte Folded Spill
	buffer_store_dword v37, off, s[0:3], s32 offset:1380 ; 4-byte Folded Spill
                                        ; implicit-def: $vgpr34_vgpr35_vgpr36_vgpr37
	s_xor_b64 exec, exec, s[6:7]
	s_cbranch_execnz .LBB1_24
; %bb.25:
	s_mov_b64 exec, s[20:21]
.LBB1_26:
	s_or_b64 exec, exec, s[10:11]
	v_or_b32_e32 v10, 64, v0
	v_cmp_gt_i32_e64 s[6:7], v12, v10
	s_and_b64 s[6:7], s[4:5], s[6:7]
	v_mov_b32_e32 v84, 0
	v_mov_b32_e32 v85, 0
	;; [unrolled: 1-line block ×4, first 2 shown]
	;;#ASMSTART
	;;#ASMEND
	s_and_saveexec_b64 s[10:11], s[6:7]
	s_cbranch_execz .LBB1_30
; %bb.27:
	s_mov_b32 s6, 0x3020104
	v_perm_b32 v36, v9, v9, s6
	v_mov_b32_e32 v37, 0x20000
	s_mov_b64 s[20:21], exec
.LBB1_28:                               ; =>This Inner Loop Header: Depth=1
	v_readfirstlane_b32 s16, v32
	v_readfirstlane_b32 s17, v33
	;; [unrolled: 1-line block ×4, first 2 shown]
	v_cmp_eq_u64_e64 s[6:7], s[16:17], v[32:33]
	v_cmp_eq_u64_e64 s[8:9], s[18:19], v[36:37]
	s_and_b64 s[6:7], s[6:7], s[8:9]
	s_and_saveexec_b64 s[6:7], s[6:7]
	s_nop 0
	buffer_load_dwordx4 v[84:87], v7, s[16:19], 0 offen offset:128
                                        ; implicit-def: $vgpr34_vgpr35_vgpr36_vgpr37
	s_xor_b64 exec, exec, s[6:7]
	s_cbranch_execnz .LBB1_28
; %bb.29:
	s_mov_b64 exec, s[20:21]
.LBB1_30:
	s_or_b64 exec, exec, s[10:11]
	v_add_u32_e32 v10, 0x50, v0
	v_cmp_gt_i32_e64 s[6:7], v12, v10
	s_and_b64 s[6:7], s[4:5], s[6:7]
	v_mov_b32_e32 v34, 0
	v_mov_b32_e32 v35, 0
	;; [unrolled: 1-line block ×4, first 2 shown]
	;;#ASMSTART
	;;#ASMEND
	buffer_store_dword v34, off, s[0:3], s32 offset:1400 ; 4-byte Folded Spill
	s_nop 0
	buffer_store_dword v35, off, s[0:3], s32 offset:1404 ; 4-byte Folded Spill
	buffer_store_dword v36, off, s[0:3], s32 offset:1408 ; 4-byte Folded Spill
	;; [unrolled: 1-line block ×3, first 2 shown]
	s_and_saveexec_b64 s[10:11], s[6:7]
	s_cbranch_execz .LBB1_34
; %bb.31:
	s_mov_b32 s6, 0x3020104
	v_perm_b32 v36, v9, v9, s6
	v_mov_b32_e32 v37, 0x20000
	s_mov_b64 s[20:21], exec
.LBB1_32:                               ; =>This Inner Loop Header: Depth=1
	v_readfirstlane_b32 s16, v32
	v_readfirstlane_b32 s17, v33
	;; [unrolled: 1-line block ×4, first 2 shown]
	v_cmp_eq_u64_e64 s[6:7], s[16:17], v[32:33]
	v_cmp_eq_u64_e64 s[8:9], s[18:19], v[36:37]
	s_and_b64 s[6:7], s[6:7], s[8:9]
	s_and_saveexec_b64 s[6:7], s[6:7]
	s_nop 0
	buffer_load_dwordx4 v[34:37], v7, s[16:19], 0 offen offset:160
	s_waitcnt vmcnt(0)
	buffer_store_dword v34, off, s[0:3], s32 offset:1400 ; 4-byte Folded Spill
	s_nop 0
	buffer_store_dword v35, off, s[0:3], s32 offset:1404 ; 4-byte Folded Spill
	buffer_store_dword v36, off, s[0:3], s32 offset:1408 ; 4-byte Folded Spill
	;; [unrolled: 1-line block ×3, first 2 shown]
                                        ; implicit-def: $vgpr34_vgpr35_vgpr36_vgpr37
	s_xor_b64 exec, exec, s[6:7]
	s_cbranch_execnz .LBB1_32
; %bb.33:
	s_mov_b64 exec, s[20:21]
.LBB1_34:
	s_or_b64 exec, exec, s[10:11]
	v_or_b32_e32 v10, 0x60, v0
	v_cmp_gt_i32_e64 s[6:7], v12, v10
	s_and_b64 s[6:7], s[4:5], s[6:7]
	v_mov_b32_e32 v100, 0
	v_mov_b32_e32 v96, 0
	;; [unrolled: 1-line block ×5, first 2 shown]
	;;#ASMSTART
	;;#ASMEND
	s_and_saveexec_b64 s[10:11], s[6:7]
	s_cbranch_execz .LBB1_38
; %bb.35:
	s_mov_b32 s6, 0x3020104
	v_perm_b32 v36, v9, v9, s6
	v_mov_b32_e32 v37, 0x20000
	s_mov_b64 s[20:21], exec
.LBB1_36:                               ; =>This Inner Loop Header: Depth=1
	v_readfirstlane_b32 s16, v32
	v_readfirstlane_b32 s17, v33
	;; [unrolled: 1-line block ×4, first 2 shown]
	v_cmp_eq_u64_e64 s[6:7], s[16:17], v[32:33]
	v_cmp_eq_u64_e64 s[8:9], s[18:19], v[36:37]
	s_and_b64 s[6:7], s[6:7], s[8:9]
	s_and_saveexec_b64 s[6:7], s[6:7]
	s_nop 0
	buffer_load_dwordx4 v[96:99], v7, s[16:19], 0 offen offset:192
                                        ; implicit-def: $vgpr34_vgpr35_vgpr36_vgpr37
	s_xor_b64 exec, exec, s[6:7]
	s_cbranch_execnz .LBB1_36
; %bb.37:
	s_mov_b64 exec, s[20:21]
.LBB1_38:
	s_or_b64 exec, exec, s[10:11]
	v_add_u32_e32 v0, 0x70, v0
	v_cmp_gt_i32_e64 s[6:7], v12, v0
	s_and_b64 s[4:5], s[4:5], s[6:7]
	v_mov_b32_e32 v101, 0
	v_mov_b32_e32 v102, 0
	;; [unrolled: 1-line block ×3, first 2 shown]
	;;#ASMSTART
	;;#ASMEND
	s_and_saveexec_b64 s[16:17], s[4:5]
	s_cbranch_execz .LBB1_42
; %bb.39:
	s_mov_b32 s4, 0x3020104
	v_perm_b32 v34, v9, v9, s4
	v_mov_b32_e32 v35, 0x20000
	s_mov_b64 s[18:19], exec
.LBB1_40:                               ; =>This Inner Loop Header: Depth=1
	v_readfirstlane_b32 s8, v32
	v_readfirstlane_b32 s9, v33
	;; [unrolled: 1-line block ×4, first 2 shown]
	v_cmp_eq_u64_e64 s[4:5], s[8:9], v[32:33]
	v_cmp_eq_u64_e64 s[6:7], s[10:11], v[34:35]
	s_and_b64 s[4:5], s[4:5], s[6:7]
	s_and_saveexec_b64 s[4:5], s[4:5]
	s_nop 0
	buffer_load_dwordx4 v[100:103], v7, s[8:11], 0 offen offset:224
                                        ; implicit-def: $vgpr32_vgpr33_vgpr34_vgpr35
                                        ; implicit-def: $vgpr7
	s_xor_b64 exec, exec, s[4:5]
	s_cbranch_execnz .LBB1_40
; %bb.41:
	s_mov_b64 exec, s[18:19]
.LBB1_42:
	s_or_b64 exec, exec, s[16:17]
	v_add_u32_e32 v10, -1, v11
	v_cmp_eq_u32_e64 s[4:5], 1, v30
	v_accvgpr_read_b32 v12, a92
	v_cndmask_b32_e64 v0, v10, v113, s[4:5]
	v_cmp_gt_i32_e64 s[6:7], 0, v27
	v_sub_u32_e32 v9, v11, v12
	v_cndmask_b32_e64 v7, v113, v10, s[4:5]
	v_cndmask_b32_e64 v0, v27, v0, s[6:7]
	v_cmp_gt_i32_e64 s[6:7], 0, v28
	v_add_u32_e32 v9, 1, v9
	v_sub_u32_e32 v12, v12, v11
	v_cndmask_b32_e64 v7, v28, v7, s[6:7]
	v_add_u32_e32 v12, 1, v12
	v_cndmask_b32_e64 v9, v9, 1, s[4:5]
	v_add_u32_e32 v9, v7, v9
	;; [unrolled: 2-line block ×3, first 2 shown]
	buffer_load_dword v0, off, s[0:3], s32 offset:1580 ; 4-byte Folded Reload
	v_mad_i64_i32 v[30:31], s[4:5], v39, s12, 0
	v_mad_i64_i32 v[26:27], s[4:5], v53, s14, 0
	v_lshlrev_b64 v[30:31], 2, v[30:31]
	v_lshlrev_b64 v[12:13], 2, v[26:27]
	s_mov_b32 s25, 1
	buffer_store_dword v113, off, s[0:3], s32 offset:1584 ; 4-byte Folded Spill
	s_waitcnt vmcnt(1)
	v_addc_co_u32_e64 v0, s[4:5], -1, v0, vcc
	v_add_co_u32_e64 v0, s[4:5], 1, v0
	buffer_store_dword v0, off, s[0:3], s32 offset:1588 ; 4-byte Folded Spill
	v_add_co_u32_e64 v0, s[4:5], v29, v30
	v_addc_co_u32_e64 v7, s[4:5], v112, v31, s[4:5]
	v_add_co_u32_e64 v72, s[4:5], v0, v12
	v_addc_co_u32_e64 v73, s[4:5], v7, v13, s[4:5]
	;;#ASMSTART
	;;#ASMEND
	; sched_barrier mask(0x00000000)
	; sched_barrier mask(0x00000000)
	v_sub_u32_e32 v0, s22, v14
	v_max_i32_e32 v0, -1, v0
	v_add_u32_e32 v0, 1, v0
	v_and_b32_e32 v32, 0xffffff80, v0
	v_add_u32_e32 v0, s22, v9
	v_add_u32_e32 v7, 0x7f, v0
	v_min_i32_e32 v7, v7, v11
	v_add_u32_e32 v7, 0x7f, v7
	buffer_store_dword v9, off, s[0:3], s32 offset:1528 ; 4-byte Folded Spill
	v_ashrrev_i32_e32 v9, 31, v7
	v_lshrrev_b32_e32 v9, 25, v9
	v_add_u32_e32 v7, v7, v9
	v_and_b32_e32 v7, 0xffffff80, v7
	v_sub_u32_e32 v7, v7, v32
	s_movk_i32 s4, 0x7f
	v_or_b32_e32 v12, 0x7f, v7
	v_cmp_lt_i32_e64 s[4:5], s4, v12
	buffer_store_dword v14, off, s[0:3], s32 offset:1324 ; 4-byte Folded Spill
                                        ; implicit-def: $vgpr9
                                        ; implicit-def: $vgpr61
                                        ; implicit-def: $vgpr13
                                        ; implicit-def: $vgpr105
                                        ; implicit-def: $vgpr25
                                        ; implicit-def: $vgpr21
                                        ; implicit-def: $vgpr107
                                        ; implicit-def: $vgpr63
                                        ; implicit-def: $vgpr111
                                        ; implicit-def: $vgpr109
                                        ; implicit-def: $vgpr59
                                        ; implicit-def: $vgpr123
                                        ; implicit-def: $vgpr113
                                        ; implicit-def: $vgpr39
                                        ; implicit-def: $vgpr117
                                        ; implicit-def: $vgpr115
                                        ; implicit-def: $vgpr43
                                        ; implicit-def: $vgpr41
                                        ; implicit-def: $vgpr47
                                        ; implicit-def: $vgpr45
                                        ; implicit-def: $vgpr7
                                        ; implicit-def: $vgpr57
                                        ; implicit-def: $vgpr27
                                        ; implicit-def: $vgpr53
                                        ; implicit-def: $vgpr31
                                        ; implicit-def: $vgpr29
                                        ; implicit-def: $vgpr35
                                        ; implicit-def: $vgpr33
                                        ; implicit-def: $vgpr91
                                        ; implicit-def: $vgpr37
                                        ; implicit-def: $vgpr95
                                        ; implicit-def: $vgpr93
                                        ; implicit-def: $vgpr14
                                        ; kill: killed $vgpr14
	s_and_saveexec_b64 s[6:7], s[4:5]
	s_xor_b64 s[16:17], exec, s[6:7]
	s_cbranch_execz .LBB1_92
; %bb.43:
	v_ashrrev_i32_e32 v9, 31, v12
	buffer_store_dword v72, off, s[0:3], s32 offset:1616 ; 4-byte Folded Spill
	s_nop 0
	buffer_store_dword v73, off, s[0:3], s32 offset:1620 ; 4-byte Folded Spill
	buffer_store_dword v74, off, s[0:3], s32 offset:1624 ; 4-byte Folded Spill
	;; [unrolled: 1-line block ×3, first 2 shown]
	v_lshrrev_b32_e32 v9, 25, v9
	v_add_u32_e32 v9, v12, v9
	buffer_load_dword v12, off, s[0:3], s32 offset:1584 ; 4-byte Folded Reload
	buffer_load_dword v13, off, s[0:3], s32 offset:1092 ; 4-byte Folded Reload
	v_ashrrev_i32_e32 v21, 7, v9
	v_addc_co_u32_e32 v9, vcc, -1, v11, vcc
	v_sub_u32_e32 v7, 0, v54
	v_mul_lo_u32 v7, v7, v55
	v_mul_hi_u32 v7, v55, v7
	s_abs_i32 s6, s12
	v_add_u32_e32 v7, v55, v7
	v_mad_u64_u32 v[26:27], s[4:5], s6, v7, 0
	v_mov_b32_e32 v17, v11
	v_add_u32_e32 v11, 1, v27
	s_ashr_i32 s7, s12, 31
	v_ashrrev_i32_e32 v7, 31, v15
	v_xor_b32_e32 v7, s7, v7
	v_mov_b32_e32 v93, 0xff800000
	s_mov_b32 s26, 0
	v_mul_f32_e32 v91, 0x3fb8aa3b, v24
	v_accvgpr_write_b32 a15, 0
	v_accvgpr_write_b32 a14, 0
	;; [unrolled: 1-line block ×61, first 2 shown]
	s_waitcnt vmcnt(0)
	v_mul_lo_u32 v12, v13, v12
	v_add3_u32 v116, v9, v12, 1
	v_mul_f32_e32 v9, 0x3f317218, v16
	buffer_load_dword v16, off, s[0:3], s32 offset:1524 ; 4-byte Folded Reload
	v_mul_f32_e32 v92, v9, v20
	v_mul_lo_u32 v9, v27, v54
	v_mad_i64_i32 v[12:13], s[4:5], v49, s12, v[118:119]
	v_sub_u32_e32 v9, s6, v9
	v_mad_i64_i32 v[118:119], s[4:5], v38, s14, v[12:13]
	v_cmp_ge_u32_e32 vcc, v9, v54
	v_sub_u32_e32 v12, v9, v54
	v_cndmask_b32_e32 v11, v27, v11, vcc
	v_cndmask_b32_e32 v9, v9, v12, vcc
	v_add_u32_e32 v12, 1, v11
	v_cmp_ge_u32_e32 vcc, v9, v54
	v_cndmask_b32_e32 v9, v11, v12, vcc
	v_xor_b32_e32 v9, v9, v7
	v_sub_u32_e32 v7, v9, v7
	v_mad_i64_i32 v[12:13], s[4:5], v7, v22, 0
	v_lshlrev_b64 v[12:13], 1, v[12:13]
	v_add_co_u32_e32 v9, vcc, v2, v12
	v_addc_co_u32_e32 v11, vcc, v3, v13, vcc
	v_mad_i64_i32 v[2:3], s[4:5], v7, v23, 0
	v_lshlrev_b64 v[2:3], 1, v[2:3]
	v_add_co_u32_e32 v7, vcc, v4, v2
	v_addc_co_u32_e32 v12, vcc, v5, v3, vcc
	v_mad_i64_i32 v[2:3], s[4:5], v50, s14, 0
	v_lshlrev_b64 v[2:3], 1, v[2:3]
	v_mad_i64_i32 v[4:5], s[4:5], v51, s14, 0
	v_add_co_u32_e32 v2, vcc, v9, v2
	v_addc_co_u32_e32 v3, vcc, v11, v3, vcc
	v_lshlrev_b64 v[4:5], 1, v[4:5]
	v_add_co_u32_e32 v22, vcc, v7, v4
	v_addc_co_u32_e32 v23, vcc, v12, v5, vcc
	s_mov_b32 s4, 0x7f800000
	v_cmp_neq_f32_e64 s[4:5], |v48|, s4
	v_cmp_lt_i32_e32 vcc, -1, v48
	s_or_b64 vcc, s[4:5], vcc
	v_mul_f32_e32 v4, 0x3fb8aa3b, v48
	v_cndmask_b32_e32 v4, v93, v4, vcc
	v_accvgpr_write_b32 a50, 0
	v_accvgpr_write_b32 a49, 0
	;; [unrolled: 1-line block ×3, first 2 shown]
	v_cndmask_b32_e64 v49, 0, 1.0, vcc
	s_mov_b32 s27, 0xff800000
	v_accvgpr_write_b32 a103, v4
	s_waitcnt vmcnt(0)
	v_mul_lo_u32 v13, v16, v10
	v_mul_lo_u32 v10, v19, v10
	; sched_barrier mask(0x00000000)
	buffer_load_dword v15, off, s[0:3], s32 offset:1072 ; 4-byte Folded Reload
	v_lshlrev_b32_e32 v7, 1, v1
	v_and_b32_e32 v12, 30, v7
	v_lshrrev_b32_e32 v9, 2, v1
	v_and_b32_e32 v11, 28, v9
	v_mov_b32_e32 v14, v12
	buffer_store_dword v11, off, s[0:3], s32 offset:1532 ; 4-byte Folded Spill
	v_add_lshl_u32 v4, v13, v52, 1
	v_mov_b32_e32 v5, 0x20000
	v_lshlrev_b32_e32 v94, 5, v16
	s_waitcnt vmcnt(1)
	v_readfirstlane_b32 s6, v15
	buffer_store_dword v14, off, s[0:3], s32 offset:1568 ; 4-byte Folded Spill
	s_nop 0
	buffer_store_dword v15, off, s[0:3], s32 offset:1572 ; 4-byte Folded Spill
	v_add3_u32 v11, v11, v32, s6
	v_mad_u64_u32 v[24:25], s[4:5], v11, v16, v[12:13]
	v_lshrrev_b32_e32 v12, 6, v1
	buffer_store_dword v12, off, s[0:3], s32 offset:1096 ; 4-byte Folded Spill
	v_add_lshl_u32 v12, s6, v12, 3
	s_movk_i32 s6, 0x110
	v_and_b32_e32 v11, 3, v1
	v_lshlrev_b32_e32 v13, 1, v11
	v_mul_u32_u24_e32 v14, 0x110, v15
	buffer_store_dword v14, off, s[0:3], s32 offset:1416 ; 4-byte Folded Spill
	v_mov_b32_e32 v14, 0x2400
	v_mad_u32_u24 v14, v15, s6, v14
	buffer_store_dword v14, off, s[0:3], s32 offset:1328 ; 4-byte Folded Spill
	v_readfirstlane_b32 s4, v14
	v_mov_b32_e32 v14, v24
	;;#ASMSTART
	s_mov_b32 m0, s4
	;;#ASMEND
	buffer_store_dword v14, off, s[0:3], s32 offset:1084 ; 4-byte Folded Spill
	s_nop 0
	buffer_store_dword v15, off, s[0:3], s32 offset:1088 ; 4-byte Folded Spill
	v_lshlrev_b32_e32 v14, 1, v24
	;;#ASMSTART
	buffer_load_dword v14, v[2:5], 0 offen offset:0 lds
	;;#ASMEND
	;;#ASMSTART
	s_add_u32 m0, 0x440, m0
	;;#ASMEND
	v_add_u32_e32 v14, v14, v94
	;;#ASMSTART
	buffer_load_dword v14, v[2:5], 0 offen offset:0 lds
	;;#ASMEND
	;;#ASMSTART
	s_add_u32 m0, 0x440, m0
	;;#ASMEND
	v_add_u32_e32 v14, v14, v94
	;; [unrolled: 7-line block ×7, first 2 shown]
	;;#ASMSTART
	buffer_load_dword v14, v[2:5], 0 offen offset:0 lds
	;;#ASMEND
	; sched_barrier mask(0x00000000)
	;;#ASMSTART
	s_waitcnt vmcnt(8)
	;;#ASMEND
	buffer_load_dword v28, off, s[0:3], s32 offset:1336 ; 4-byte Folded Reload
	buffer_load_dword v29, off, s[0:3], s32 offset:1340 ; 4-byte Folded Reload
	;; [unrolled: 1-line block ×20, first 2 shown]
	v_mov_b32_e32 v14, 0x4800
	v_mad_u32_u24 v14, v15, s6, v14
	v_and_b32_e32 v20, 24, v9
	v_bfe_i32 v15, v1, 4, 1
	v_mul_u32_u24_e32 v11, 0x88, v11
	v_lshlrev_b32_e32 v16, 1, v20
	v_and_b32_e32 v15, 0x440, v15
	v_lshl_add_u32 v11, v11, 1, v16
	v_min_i32_e32 v0, v0, v17
	s_ashr_i32 s4, s22, 31
	s_lshr_b32 s4, s4, 27
	s_add_i32 s28, s22, 0x80
	s_add_i32 s22, s22, s4
	s_movk_i32 s4, 0x900
	v_mov_b32_e32 v45, v5
	s_ashr_i32 s29, s22, 5
	v_mov_b32_e32 v117, v5
	s_movk_i32 s30, 0x480
	s_add_u32 s34, s13, 0x9e3779b9
	s_add_u32 s35, s15, 0xbb67ae85
	;; [unrolled: 1-line block ×10, first 2 shown]
	s_add_i32 s44, s15, 0x646e171e
	s_mov_b64 s[18:19], 0
	s_mov_b32 s45, 0x1000504
	s_mov_b32 s46, 0x3020706
	;; [unrolled: 1-line block ×4, first 2 shown]
	s_movk_i32 s49, 0xff
	s_waitcnt vmcnt(0)
	;;#ASMSTART
	 
	;;#ASMEND
	buffer_store_dword v14, off, s[0:3], s32 offset:1420 ; 4-byte Folded Spill
	v_lshrrev_b32_e32 v14, 1, v1
	v_and_b32_e32 v14, 4, v14
	v_and_or_b32 v14, v7, 8, v14
	v_lshlrev_b32_e32 v14, 4, v14
	v_add3_u32 v95, v11, v15, v14
	buffer_load_dword v11, off, s[0:3], s32 offset:1588 ; 4-byte Folded Reload
	v_lshlrev_b32_e32 v15, 3, v8
	buffer_store_dword v0, off, s[0:3], s32 offset:1424 ; 4-byte Folded Spill
	v_or_b32_e32 v0, 1, v20
	buffer_store_dword v0, off, s[0:3], s32 offset:1536 ; 4-byte Folded Spill
	v_or_b32_e32 v0, 2, v20
	;; [unrolled: 2-line block ×7, first 2 shown]
	buffer_store_dword v0, off, s[0:3], s32 offset:1560 ; 4-byte Folded Spill
	v_lshlrev_b32_e32 v0, 2, v1
	v_add_u32_e32 v9, 16, v9
	buffer_store_dword v17, off, s[0:3], s32 offset:1576 ; 4-byte Folded Spill
	v_lshrrev_b32_e32 v9, 3, v9
	v_sub_u32_e32 v9, v9, v6
	v_lshrrev_b32_e32 v8, 3, v8
	v_mul_u32_u24_e32 v14, 0x48, v8
	v_mul_i32_i24_e32 v16, 0x408, v9
	s_waitcnt vmcnt(9)
	v_add_lshl_u32 v44, v10, v11, 1
	v_add_u32_e32 v10, 0x80, v0
	buffer_store_dword v10, off, s[0:3], s32 offset:1100 ; 4-byte Folded Spill
	v_bfe_u32 v10, v1, 2, 4
	v_and_b32_e32 v11, 6, v7
	v_mul_u32_u24_e32 v10, 0x48, v10
	buffer_store_dword v11, off, s[0:3], s32 offset:1428 ; 4-byte Folded Spill
	buffer_store_dword v10, off, s[0:3], s32 offset:1432 ; 4-byte Folded Spill
	v_or_b32_e32 v10, v10, v11
	buffer_store_dword v10, off, s[0:3], s32 offset:1104 ; 4-byte Folded Spill
	v_mul_u32_u24_e32 v10, 0x408, v6
	v_mul_u32_u24_e32 v6, 0x480, v6
	buffer_store_dword v15, off, s[0:3], s32 offset:1444 ; 4-byte Folded Spill
	v_and_or_b32 v6, v15, 56, v6
	v_lshrrev_b32_e32 v15, 3, v1
	buffer_store_dword v15, off, s[0:3], s32 offset:1612 ; 4-byte Folded Spill
	v_or_b32_e32 v15, 12, v15
	buffer_store_dword v10, off, s[0:3], s32 offset:1436 ; 4-byte Folded Spill
	v_mul_u32_u24_e32 v10, 0x408, v8
	v_sub_u32_e32 v8, v15, v8
	v_mul_u32_u24_e32 v8, 0x48, v8
	v_add_lshl_u32 v17, v6, v14, 1
	v_mul_i32_i24_e32 v15, 0x4f8, v9
	v_lshlrev_b32_e32 v14, 1, v14
	v_lshlrev_b32_e32 v8, 1, v8
	v_add3_u32 v15, v16, v15, v17
	v_lshl_add_u32 v6, v6, 1, v14
	v_and_b32_e32 v11, 7, v1
	v_add_u32_e32 v24, v17, v8
	buffer_store_dword v15, off, s[0:3], s32 offset:1108 ; 4-byte Folded Spill
	v_mad_i32_i24 v15, v9, s4, v17
	v_add_u32_e32 v8, v6, v8
	buffer_store_dword v11, off, s[0:3], s32 offset:1440 ; 4-byte Folded Spill
	buffer_store_dword v16, off, s[0:3], s32 offset:1448 ; 4-byte Folded Spill
	;; [unrolled: 1-line block ×5, first 2 shown]
	v_mad_i32_i24 v15, v9, s4, v24
	v_add_u32_e32 v14, 0x2400, v6
	buffer_store_dword v8, off, s[0:3], s32 offset:1124 ; 4-byte Folded Spill
	v_mad_i32_i24 v8, v9, s4, v6
	buffer_store_dword v15, off, s[0:3], s32 offset:1452 ; 4-byte Folded Spill
	buffer_store_dword v8, off, s[0:3], s32 offset:1128 ; 4-byte Folded Spill
	;; [unrolled: 1-line block ×3, first 2 shown]
	v_mad_i32_i24 v8, v9, s4, v14
	buffer_store_dword v8, off, s[0:3], s32 offset:1460 ; 4-byte Folded Spill
	v_add_u32_e32 v6, 0x4800, v6
	v_mov_b32_e32 v8, s31
	v_add_co_u32_e32 v14, vcc, s23, v1
	buffer_store_dword v6, off, s[0:3], s32 offset:1464 ; 4-byte Folded Spill
	v_mad_i32_i24 v6, v9, s4, v6
	v_addc_co_u32_e32 v1, vcc, 0, v8, vcc
	buffer_store_dword v6, off, s[0:3], s32 offset:1468 ; 4-byte Folded Spill
	buffer_store_dword v21, off, s[0:3], s32 offset:1472 ; 4-byte Folded Spill
	;; [unrolled: 1-line block ×3, first 2 shown]
	s_nop 0
	buffer_store_dword v15, off, s[0:3], s32 offset:1496 ; 4-byte Folded Spill
	buffer_store_dword v16, off, s[0:3], s32 offset:1500 ; 4-byte Folded Spill
	;; [unrolled: 1-line block ×4, first 2 shown]
	s_nop 0
	buffer_store_dword v1, off, s[0:3], s32 offset:1512 ; 4-byte Folded Spill
	buffer_store_dword v2, off, s[0:3], s32 offset:1516 ; 4-byte Folded Spill
	;; [unrolled: 1-line block ×3, first 2 shown]
	v_and_b32_e32 v7, 0xc0, v7
	v_and_b32_e32 v1, 1, v18
	s_movk_i32 s4, 0x6c00
	v_or_b32_e32 v11, v7, v11
	v_cmp_eq_u32_e32 vcc, 1, v1
	v_add3_u32 v1, v7, v10, s4
	buffer_store_dword v1, off, s[0:3], s32 offset:1476 ; 4-byte Folded Spill
	v_add3_u32 v1, v11, v10, s4
	v_max_i32_e32 v6, 1, v21
	buffer_store_dword v1, off, s[0:3], s32 offset:1076 ; 4-byte Folded Spill
	buffer_store_dword v20, off, s[0:3], s32 offset:1564 ; 4-byte Folded Spill
	v_add_u32_e32 v1, v32, v20
	buffer_store_dword v1, off, s[0:3], s32 offset:1132 ; 4-byte Folded Spill
	v_lshlrev_b32_e32 v1, 7, v6
	buffer_store_dword v1, off, s[0:3], s32 offset:1480 ; 4-byte Folded Spill
	s_add_i32 s31, s13, 0xb54cda56
	v_and_b32_e32 v0, 0xf0, v0
	v_accvgpr_write_b32 a68, v0
	v_add3_u32 v0, v32, v12, v13
	v_add_u32_e32 v1, 0x60, v0
	v_mul_lo_u32 v1, v19, v1
	v_lshlrev_b32_e32 v1, 1, v1
	v_accvgpr_write_b32 a69, v1
	v_lshlrev_b32_e32 v1, 8, v19
	buffer_store_dword v1, off, s[0:3], s32 offset:1484 ; 4-byte Folded Spill
	v_add_u32_e32 v1, 0x61, v0
	v_mul_lo_u32 v1, v19, v1
	v_lshlrev_b32_e32 v1, 1, v1
	v_accvgpr_write_b32 a70, v1
	v_add_u32_e32 v1, 0x41, v0
	v_mul_lo_u32 v1, v19, v1
	v_lshlrev_b32_e32 v1, 1, v1
	v_accvgpr_write_b32 a64, v1
	;; [unrolled: 4-line block ×4, first 2 shown]
	v_add_u32_e32 v1, 32, v0
	v_mul_lo_u32 v1, v19, v1
	v_lshlrev_b32_e32 v1, 1, v1
	v_mul_lo_u32 v0, v19, v0
	v_accvgpr_write_b32 a102, v1
	v_add_lshl_u32 v1, v0, v19, 1
	v_accvgpr_write_b32 a104, v1
	v_lshlrev_b32_e32 v26, 1, v0
	buffer_store_dword v32, off, s[0:3], s32 offset:1488 ; 4-byte Folded Spill
	buffer_store_dword v32, off, s[0:3], s32 offset:1136 ; 4-byte Folded Spill
	s_branch .LBB1_45
.LBB1_44:                               ;   in Loop: Header=BB1_45 Depth=1
	s_or_b64 exec, exec, s[6:7]
	v_lshrrev_b32_e32 v0, 8, v19
	v_and_b32_e32 v17, 0xff, v0
	v_lshrrev_b32_e32 v0, 24, v18
	v_and_b32_sdwa v1, v18, s49 dst_sel:DWORD dst_unused:UNUSED_PAD src0_sel:WORD_1 src1_sel:DWORD
	v_lshrrev_b32_e32 v6, 8, v18
	v_and_b32_e32 v7, 0xff, v18
	s_waitcnt lgkmcnt(0)
	s_barrier
	buffer_load_dword v18, off, s[0:3], s32 offset:1112 ; 4-byte Folded Reload
	v_accvgpr_read_b32 v8, a111
	v_and_b32_e32 v6, 0xff, v6
	v_mul_f32_e32 v8, v90, v8
	v_cmp_ge_u16_sdwa s[4:5], v126, v7 src0_sel:BYTE_0 src1_sel:DWORD
	v_accvgpr_read_b32 v7, a90
	v_cndmask_b32_e64 v12, 0, v8, s[4:5]
	v_mul_f32_e32 v7, v90, v7
	v_cmp_ge_u16_sdwa s[4:5], v126, v6 src0_sel:BYTE_0 src1_sel:DWORD
	v_accvgpr_read_b32 v6, a91
	v_cndmask_b32_e64 v13, 0, v7, s[4:5]
	v_mul_f32_e32 v14, v90, v6
	v_cmp_ge_u16_sdwa s[4:5], v126, v1 src0_sel:BYTE_0 src1_sel:DWORD
	v_cndmask_b32_e64 v1, 0, v14, s[4:5]
	v_accvgpr_read_b32 v14, a74
	v_mul_f32_e32 v14, v90, v14
	v_cmp_ge_u16_sdwa s[4:5], v126, v0 src0_sel:BYTE_0 src1_sel:DWORD
	v_cndmask_b32_e64 v14, 0, v14, s[4:5]
	v_cvt_pkrtz_f16_f32 v0, v12, v13
	v_cvt_pkrtz_f16_f32 v1, v1, v14
	v_and_b32_sdwa v16, v19, s49 dst_sel:DWORD dst_unused:UNUSED_PAD src0_sel:WORD_1 src1_sel:DWORD
	v_lshrrev_b32_e32 v11, 24, v19
	s_addk_i32 s26, 0x80
	s_add_i32 s25, s25, 1
	ds_read_b128 v[28:31], v60
	s_waitcnt vmcnt(0)
	ds_read_b128 v[6:9], v18
	ds_read_b128 v[12:15], v18 offset:576
	s_waitcnt lgkmcnt(1)
	v_mfma_f32_32x32x8f16 a[0:15], v[6:7], v[0:1], a[0:15]
	v_and_b32_e32 v6, 0xff, v19
	v_accvgpr_read_b32 v7, a75
	v_mul_f32_e32 v7, v90, v7
	v_cmp_ge_u16_sdwa s[4:5], v126, v6 src0_sel:BYTE_0 src1_sel:DWORD
	v_cndmask_b32_e64 v6, 0, v7, s[4:5]
	v_accvgpr_read_b32 v7, a126
	v_mul_f32_e32 v7, v90, v7
	v_cmp_ge_u16_sdwa s[4:5], v126, v17 src0_sel:BYTE_0 src1_sel:DWORD
	v_mov_b32_e32 v17, v68
	v_cndmask_b32_e64 v7, 0, v7, s[4:5]
	v_mul_f32_e32 v17, v90, v17
	v_cmp_ge_u16_sdwa s[4:5], v126, v16 src0_sel:BYTE_0 src1_sel:DWORD
	v_cndmask_b32_e64 v17, 0, v17, s[4:5]
	v_mul_f32_e32 v16, v90, v64
	v_cmp_ge_u16_sdwa s[4:5], v126, v11 src0_sel:BYTE_0 src1_sel:DWORD
	v_cndmask_b32_e64 v11, 0, v16, s[4:5]
	v_cvt_pkrtz_f16_f32 v17, v17, v11
	buffer_load_dword v11, off, s[0:3], s32 offset:1120 ; 4-byte Folded Reload
	s_waitcnt lgkmcnt(0)
	v_mfma_f32_32x32x8f16 a[16:31], v[12:13], v[0:1], a[16:31]
	v_cvt_pkrtz_f16_f32 v16, v6, v7
	s_nop 1
	v_mfma_f32_32x32x8f16 a[0:15], v[8:9], v[16:17], a[0:15]
	ds_read_b128 v[6:9], v18 offset:1152
	v_mfma_f32_32x32x8f16 a[16:31], v[14:15], v[16:17], a[16:31]
	s_waitcnt vmcnt(0)
	ds_read_b128 v[12:15], v11
	s_waitcnt lgkmcnt(1)
	v_mfma_f32_32x32x8f16 a[32:47], v[6:7], v[0:1], a[32:47]
	v_lshrrev_b32_e32 v6, 8, v21
	v_and_b32_e32 v11, 0xff, v6
	v_lshrrev_b32_e32 v6, 8, v20
	v_and_b32_e32 v7, 0xff, v20
	v_and_b32_e32 v6, 0xff, v6
	v_cmp_ge_u16_sdwa s[4:5], v126, v7 src0_sel:BYTE_0 src1_sel:DWORD
	buffer_load_dword v7, off, s[0:3], s32 offset:1276 ; 4-byte Folded Reload
	v_mfma_f32_32x32x8f16 a[32:47], v[8:9], v[16:17], a[32:47]
	buffer_load_dword v8, off, s[0:3], s32 offset:1280 ; 4-byte Folded Reload
	s_waitcnt vmcnt(0)
	v_mul_f32_e32 v8, v90, v8
	s_waitcnt lgkmcnt(0)
	v_mfma_f32_32x32x8f16 a[48:63], v[12:13], v[0:1], a[48:63]
	v_and_b32_sdwa v13, v20, s49 dst_sel:DWORD dst_unused:UNUSED_PAD src0_sel:WORD_1 src1_sel:DWORD
	v_lshrrev_b32_e32 v12, 24, v20
	v_and_b32_sdwa v1, v21, s49 dst_sel:DWORD dst_unused:UNUSED_PAD src0_sel:WORD_1 src1_sel:DWORD
	v_lshrrev_b32_e32 v0, 24, v21
	v_mfma_f32_32x32x8f16 a[48:63], v[14:15], v[16:17], a[48:63]
	v_cndmask_b32_e64 v14, 0, v8, s[4:5]
	v_cmp_ge_u16_sdwa s[4:5], v126, v6 src0_sel:BYTE_0 src1_sel:DWORD
	buffer_load_dword v6, off, s[0:3], s32 offset:1272 ; 4-byte Folded Reload
	v_mul_f32_e32 v7, v90, v7
	v_cndmask_b32_e64 v15, 0, v7, s[4:5]
	v_cmp_ge_u16_sdwa s[4:5], v126, v13 src0_sel:BYTE_0 src1_sel:DWORD
	v_cvt_pkrtz_f16_f32 v26, v14, v15
	s_waitcnt vmcnt(0)
	v_mul_f32_e32 v16, v90, v6
	v_cndmask_b32_e64 v13, 0, v16, s[4:5]
	buffer_load_dword v16, off, s[0:3], s32 offset:1252 ; 4-byte Folded Reload
	buffer_load_dword v6, off, s[0:3], s32 offset:1108 ; 4-byte Folded Reload
	v_cmp_ge_u16_sdwa s[4:5], v126, v12 src0_sel:BYTE_0 src1_sel:DWORD
	s_waitcnt vmcnt(1)
	v_mul_f32_e32 v16, v90, v16
	v_cndmask_b32_e64 v12, 0, v16, s[4:5]
	buffer_load_dword v16, off, s[0:3], s32 offset:1116 ; 4-byte Folded Reload
	s_waitcnt vmcnt(1)
	ds_read_b128 v[6:9], v6
	v_cvt_pkrtz_f16_f32 v27, v13, v12
	s_waitcnt vmcnt(0)
	ds_read_b128 v[12:15], v16 offset:576
	s_waitcnt lgkmcnt(1)
	v_mfma_f32_32x32x8f16 a[0:15], v[6:7], v[26:27], a[0:15]
	buffer_load_dword v7, off, s[0:3], s32 offset:1208 ; 4-byte Folded Reload
	v_and_b32_e32 v6, 0xff, v21
	v_cmp_ge_u16_sdwa s[4:5], v126, v6 src0_sel:BYTE_0 src1_sel:DWORD
	s_waitcnt vmcnt(0)
	v_mul_f32_e32 v7, v90, v7
	v_cndmask_b32_e64 v6, 0, v7, s[4:5]
	buffer_load_dword v7, off, s[0:3], s32 offset:1200 ; 4-byte Folded Reload
	v_cmp_ge_u16_sdwa s[4:5], v126, v11 src0_sel:BYTE_0 src1_sel:DWORD
	buffer_load_dword v11, off, s[0:3], s32 offset:1196 ; 4-byte Folded Reload
	s_waitcnt lgkmcnt(0)
	v_mfma_f32_32x32x8f16 a[16:31], v[12:13], v[26:27], a[16:31]
	s_waitcnt vmcnt(1)
	v_mul_f32_e32 v7, v90, v7
	v_cndmask_b32_e64 v7, 0, v7, s[4:5]
	s_waitcnt vmcnt(0)
	v_mul_f32_e32 v11, v90, v11
	v_cmp_ge_u16_sdwa s[4:5], v126, v1 src0_sel:BYTE_0 src1_sel:DWORD
	v_cndmask_b32_e64 v1, 0, v11, s[4:5]
	v_mul_f32_e32 v11, v90, v125
	v_cmp_ge_u16_sdwa s[4:5], v126, v0 src0_sel:BYTE_0 src1_sel:DWORD
	v_cndmask_b32_e64 v0, 0, v11, s[4:5]
	v_cvt_pkrtz_f16_f32 v32, v6, v7
	v_cvt_pkrtz_f16_f32 v33, v1, v0
	v_mfma_f32_32x32x8f16 a[48:63], v[28:29], v[26:27], a[48:63]
	buffer_load_dword v0, off, s[0:3], s32 offset:1204 ; 4-byte Folded Reload
	v_accvgpr_read_b32 v1, a105
	v_mfma_f32_32x32x8f16 a[16:31], v[14:15], v[32:33], a[16:31]
	ds_read_b128 v[14:17], v16 offset:1152
	s_waitcnt lgkmcnt(0)
	v_mfma_f32_32x32x8f16 a[32:47], v[14:15], v[26:27], a[32:47]
	buffer_load_dword v27, off, s[0:3], s32 offset:1484 ; 4-byte Folded Reload
	v_accvgpr_read_b32 v26, a69
	s_waitcnt vmcnt(0)
	v_add_u32_e32 v26, v26, v27
	v_accvgpr_write_b32 a69, v26
	v_accvgpr_read_b32 v26, a70
	v_add_u32_e32 v26, v26, v27
	v_accvgpr_write_b32 a70, v26
	v_accvgpr_read_b32 v26, a64
	;; [unrolled: 3-line block ×6, first 2 shown]
	v_add_u32_e32 v26, v26, v27
	v_accvgpr_write_b32 a104, v26
	buffer_load_dword v26, off, s[0:3], s32 offset:1480 ; 4-byte Folded Reload
	v_add_f32_e32 v49, v0, v1
	buffer_load_dword v0, off, s[0:3], s32 offset:1188 ; 4-byte Folded Reload
	v_mfma_f32_32x32x8f16 a[0:15], v[8:9], v[32:33], a[0:15]
	v_accvgpr_read_b32 v9, a31
	v_accvgpr_read_b32 v8, a30
	;; [unrolled: 1-line block ×14, first 2 shown]
	s_waitcnt vmcnt(1)
	v_cmp_eq_u32_e64 s[4:5], s26, v26
	buffer_load_dword v26, off, s[0:3], s32 offset:1192 ; 4-byte Folded Reload
	v_mfma_f32_32x32x8f16 a[32:47], v[16:17], v[32:33], a[32:47]
	s_waitcnt vmcnt(1)
	v_fmac_f32_e32 v49, v0, v10
	v_accvgpr_read_b32 v1, a15
	v_accvgpr_read_b32 v0, a14
	;; [unrolled: 1-line block ×14, first 2 shown]
	v_mfma_f32_32x32x8f16 a[48:63], v[30:31], v[32:33], a[48:63]
	s_or_b64 s[18:19], s[4:5], s[18:19]
	s_waitcnt vmcnt(0)
	v_add_u32_e32 v26, v26, v27
	v_accvgpr_read_b32 v21, a47
	v_accvgpr_read_b32 v20, a46
	;; [unrolled: 1-line block ×32, first 2 shown]
	s_andn2_b64 exec, exec, s[18:19]
	s_cbranch_execz .LBB1_89
.LBB1_45:                               ; =>This Loop Header: Depth=1
                                        ;     Child Loop BB1_46 Depth 2
                                        ;     Child Loop BB1_48 Depth 2
	;; [unrolled: 1-line block ×16, first 2 shown]
	v_accvgpr_read_b32 v1, a15
	v_accvgpr_read_b32 v0, a14
	buffer_store_dword v49, off, s[0:3], s32 offset:1188 ; 4-byte Folded Spill
	buffer_store_dword v0, off, s[0:3], s32 offset:1180 ; 4-byte Folded Spill
	s_nop 0
	buffer_store_dword v1, off, s[0:3], s32 offset:1184 ; 4-byte Folded Spill
	v_accvgpr_read_b32 v1, a13
	v_accvgpr_read_b32 v0, a12
	buffer_store_dword v0, off, s[0:3], s32 offset:1172 ; 4-byte Folded Spill
	s_nop 0
	buffer_store_dword v1, off, s[0:3], s32 offset:1176 ; 4-byte Folded Spill
	v_accvgpr_read_b32 v1, a1
	v_accvgpr_read_b32 v0, a0
	;; [unrolled: 5-line block ×17, first 2 shown]
	buffer_store_dword v0, off, s[0:3], s32 offset:1140 ; 4-byte Folded Spill
	s_nop 0
	buffer_store_dword v1, off, s[0:3], s32 offset:1144 ; 4-byte Folded Spill
	buffer_load_dword v0, off, s[0:3], s32 offset:1420 ; 4-byte Folded Reload
	v_accvgpr_mov_b32 a65, a103
	v_accvgpr_mov_b32 a97, a11
	;; [unrolled: 1-line block ×29, first 2 shown]
	s_waitcnt vmcnt(0)
	v_readfirstlane_b32 s4, v0
	;;#ASMSTART
	s_mov_b32 m0, s4
	;;#ASMEND
	buffer_load_dword v14, off, s[0:3], s32 offset:1084 ; 4-byte Folded Reload
	buffer_load_dword v15, off, s[0:3], s32 offset:1088 ; 4-byte Folded Reload
	s_waitcnt vmcnt(1)
	v_lshlrev_b32_e32 v0, 1, v14
	v_add_u32_e32 v1, 64, v0
	;;#ASMSTART
	buffer_load_dword v1, v[2:5], 0 offen offset:0 lds
	;;#ASMEND
	;;#ASMSTART
	s_add_u32 m0, 0x440, m0
	;;#ASMEND
	v_add_u32_e32 v1, v1, v94
	;;#ASMSTART
	buffer_load_dword v1, v[2:5], 0 offen offset:0 lds
	;;#ASMEND
	;;#ASMSTART
	s_add_u32 m0, 0x440, m0
	;;#ASMEND
	;; [unrolled: 7-line block ×7, first 2 shown]
	v_add_u32_e32 v1, v1, v94
	;;#ASMSTART
	buffer_load_dword v1, v[2:5], 0 offen offset:0 lds
	;;#ASMEND
	;;#ASMSTART
	s_waitcnt vmcnt(8)
	;;#ASMEND
	s_barrier
	; sched_barrier mask(0x00000000)
	ds_read_b128 v[6:9], v95 offset:9216
	buffer_load_dword v10, off, s[0:3], s32 offset:1336 ; 4-byte Folded Reload
	buffer_load_dword v11, off, s[0:3], s32 offset:1340 ; 4-byte Folded Reload
	;; [unrolled: 1-line block ×4, first 2 shown]
	v_add_u32_e32 v0, 0x80, v0
	v_add_u32_e32 v14, 0x60, v14
	s_waitcnt vmcnt(2) lgkmcnt(0)
	v_mfma_f32_32x32x8f16 a[48:63], v[6:7], v[10:11], 0
	s_waitcnt vmcnt(0)
	v_mfma_f32_32x32x8f16 a[48:63], v[8:9], v[12:13], a[48:63]
	ds_read_b128 v[6:9], v95 offset:11392
	s_waitcnt lgkmcnt(0)
	v_mfma_f32_32x32x8f16 a[32:47], v[6:7], v[10:11], 0
	v_mfma_f32_32x32x8f16 a[32:47], v[8:9], v[12:13], a[32:47]
	ds_read_b128 v[6:9], v95 offset:13568
	s_waitcnt lgkmcnt(0)
	v_mfma_f32_32x32x8f16 a[16:31], v[6:7], v[10:11], 0
	;; [unrolled: 4-line block ×3, first 2 shown]
	v_mfma_f32_32x32x8f16 a[0:15], v[8:9], v[12:13], a[0:15]
	ds_read_b128 v[6:9], v95 offset:9248
	buffer_load_dword v10, off, s[0:3], s32 offset:1352 ; 4-byte Folded Reload
	buffer_load_dword v11, off, s[0:3], s32 offset:1356 ; 4-byte Folded Reload
	;; [unrolled: 1-line block ×5, first 2 shown]
	s_waitcnt vmcnt(0)
	v_readfirstlane_b32 s4, v1
	s_waitcnt lgkmcnt(0)
	v_mfma_f32_32x32x8f16 a[48:63], v[6:7], v[10:11], a[48:63]
	v_mfma_f32_32x32x8f16 a[48:63], v[8:9], v[12:13], a[48:63]
	ds_read_b128 v[6:9], v95 offset:11424
	s_waitcnt lgkmcnt(0)
	v_mfma_f32_32x32x8f16 a[32:47], v[6:7], v[10:11], a[32:47]
	v_mfma_f32_32x32x8f16 a[32:47], v[8:9], v[12:13], a[32:47]
	ds_read_b128 v[6:9], v95 offset:13600
	;; [unrolled: 4-line block ×3, first 2 shown]
	;;#ASMSTART
	s_mov_b32 m0, s4
	;;#ASMEND
	;;#ASMSTART
	buffer_load_dword v0, v[2:5], 0 offen offset:0 lds
	;;#ASMEND
	;;#ASMSTART
	s_add_u32 m0, 0x440, m0
	;;#ASMEND
	v_add_u32_e32 v0, v0, v94
	;;#ASMSTART
	buffer_load_dword v0, v[2:5], 0 offen offset:0 lds
	;;#ASMEND
	;;#ASMSTART
	s_add_u32 m0, 0x440, m0
	;;#ASMEND
	v_add_u32_e32 v0, v0, v94
	;; [unrolled: 7-line block ×4, first 2 shown]
	;;#ASMSTART
	buffer_load_dword v0, v[2:5], 0 offen offset:0 lds
	;;#ASMEND
	s_waitcnt lgkmcnt(0)
	v_mfma_f32_32x32x8f16 a[0:15], v[6:7], v[10:11], a[0:15]
	;;#ASMSTART
	s_add_u32 m0, 0x440, m0
	;;#ASMEND
	v_add_u32_e32 v0, v0, v94
	;;#ASMSTART
	buffer_load_dword v0, v[2:5], 0 offen offset:0 lds
	;;#ASMEND
	;;#ASMSTART
	s_add_u32 m0, 0x440, m0
	;;#ASMEND
	v_add_u32_e32 v0, v0, v94
	;;#ASMSTART
	buffer_load_dword v0, v[2:5], 0 offen offset:0 lds
	;;#ASMEND
	;;#ASMSTART
	s_add_u32 m0, 0x440, m0
	;;#ASMEND
	v_add_u32_e32 v0, v0, v94
	;;#ASMSTART
	buffer_load_dword v0, v[2:5], 0 offen offset:0 lds
	;;#ASMEND
	;;#ASMSTART
	s_waitcnt vmcnt(8)
	;;#ASMEND
	s_barrier
	v_mfma_f32_32x32x8f16 a[0:15], v[8:9], v[12:13], a[0:15]
	; sched_barrier mask(0x00000000)
	ds_read_b128 v[6:9], v95 offset:18432
	buffer_load_dword v10, off, s[0:3], s32 offset:1384 ; 4-byte Folded Reload
	buffer_load_dword v11, off, s[0:3], s32 offset:1388 ; 4-byte Folded Reload
	;; [unrolled: 1-line block ×4, first 2 shown]
	s_waitcnt vmcnt(2) lgkmcnt(0)
	v_mfma_f32_32x32x8f16 a[48:63], v[6:7], v[10:11], a[48:63]
	s_waitcnt vmcnt(0)
	v_mfma_f32_32x32x8f16 a[48:63], v[8:9], v[12:13], a[48:63]
	ds_read_b128 v[6:9], v95 offset:20608
	s_waitcnt lgkmcnt(0)
	v_mfma_f32_32x32x8f16 a[32:47], v[6:7], v[10:11], a[32:47]
	v_mfma_f32_32x32x8f16 a[32:47], v[8:9], v[12:13], a[32:47]
	ds_read_b128 v[6:9], v95 offset:22784
	s_waitcnt lgkmcnt(0)
	v_mfma_f32_32x32x8f16 a[16:31], v[6:7], v[10:11], a[16:31]
	;; [unrolled: 4-line block ×3, first 2 shown]
	v_mfma_f32_32x32x8f16 a[0:15], v[8:9], v[12:13], a[0:15]
	ds_read_b128 v[6:9], v95 offset:18464
	buffer_load_dword v10, off, s[0:3], s32 offset:1368 ; 4-byte Folded Reload
	buffer_load_dword v11, off, s[0:3], s32 offset:1372 ; 4-byte Folded Reload
	;; [unrolled: 1-line block ×5, first 2 shown]
	s_waitcnt vmcnt(0)
	v_readfirstlane_b32 s4, v0
	s_waitcnt lgkmcnt(0)
	v_mfma_f32_32x32x8f16 a[48:63], v[6:7], v[10:11], a[48:63]
	v_mov_b32_e32 v0, v14
	v_mfma_f32_32x32x8f16 a[48:63], v[8:9], v[12:13], a[48:63]
	ds_read_b128 v[6:9], v95 offset:20640
	s_waitcnt lgkmcnt(0)
	v_mfma_f32_32x32x8f16 a[32:47], v[6:7], v[10:11], a[32:47]
	v_mfma_f32_32x32x8f16 a[32:47], v[8:9], v[12:13], a[32:47]
	ds_read_b128 v[6:9], v95 offset:22816
	s_waitcnt lgkmcnt(0)
	v_mfma_f32_32x32x8f16 a[16:31], v[6:7], v[10:11], a[16:31]
	v_mfma_f32_32x32x8f16 a[16:31], v[8:9], v[12:13], a[16:31]
	ds_read_b128 v[6:9], v95 offset:24992
	;;#ASMSTART
	s_mov_b32 m0, s4
	;;#ASMEND
	buffer_store_dword v0, off, s[0:3], s32 offset:1084 ; 4-byte Folded Spill
	s_nop 0
	buffer_store_dword v1, off, s[0:3], s32 offset:1088 ; 4-byte Folded Spill
	v_lshlrev_b32_e32 v0, 1, v14
	;;#ASMSTART
	buffer_load_dword v0, v[2:5], 0 offen offset:0 lds
	;;#ASMEND
	;;#ASMSTART
	s_add_u32 m0, 0x440, m0
	;;#ASMEND
	v_add_u32_e32 v0, v0, v94
	;;#ASMSTART
	buffer_load_dword v0, v[2:5], 0 offen offset:0 lds
	;;#ASMEND
	;;#ASMSTART
	s_add_u32 m0, 0x440, m0
	;;#ASMEND
	v_add_u32_e32 v0, v0, v94
	;; [unrolled: 7-line block ×3, first 2 shown]
	;;#ASMSTART
	buffer_load_dword v0, v[2:5], 0 offen offset:0 lds
	;;#ASMEND
	;;#ASMSTART
	s_add_u32 m0, 0x440, m0
	;;#ASMEND
	s_waitcnt lgkmcnt(0)
	v_mfma_f32_32x32x8f16 a[0:15], v[6:7], v[10:11], a[0:15]
	v_add_u32_e32 v0, v0, v94
	;;#ASMSTART
	buffer_load_dword v0, v[2:5], 0 offen offset:0 lds
	;;#ASMEND
	;;#ASMSTART
	s_add_u32 m0, 0x440, m0
	;;#ASMEND
	v_add_u32_e32 v0, v0, v94
	;;#ASMSTART
	buffer_load_dword v0, v[2:5], 0 offen offset:0 lds
	;;#ASMEND
	;;#ASMSTART
	s_add_u32 m0, 0x440, m0
	;;#ASMEND
	;; [unrolled: 7-line block ×3, first 2 shown]
	v_add_u32_e32 v0, v0, v94
	;;#ASMSTART
	buffer_load_dword v0, v[2:5], 0 offen offset:0 lds
	;;#ASMEND
	;;#ASMSTART
	s_waitcnt vmcnt(8)
	;;#ASMEND
	s_barrier
	v_mfma_f32_32x32x8f16 a[0:15], v[8:9], v[12:13], a[0:15]
	; sched_barrier mask(0x00000000)
	ds_read_b128 v[6:9], v95
	v_accvgpr_read_b32 v0, a68
	v_add_u32_e32 v0, v0, v26
	s_mov_b64 s[20:21], exec
	s_waitcnt lgkmcnt(0)
	v_mfma_f32_32x32x8f16 a[48:63], v[6:7], v[84:85], a[48:63]
	v_mfma_f32_32x32x8f16 a[48:63], v[8:9], v[86:87], a[48:63]
	ds_read_b128 v[6:9], v95 offset:2176
	s_waitcnt lgkmcnt(0)
	v_mfma_f32_32x32x8f16 a[32:47], v[6:7], v[84:85], a[32:47]
	v_mfma_f32_32x32x8f16 a[32:47], v[8:9], v[86:87], a[32:47]
	ds_read_b128 v[6:9], v95 offset:4352
	;; [unrolled: 4-line block ×4, first 2 shown]
	buffer_load_dword v10, off, s[0:3], s32 offset:1400 ; 4-byte Folded Reload
	buffer_load_dword v11, off, s[0:3], s32 offset:1404 ; 4-byte Folded Reload
	;; [unrolled: 1-line block ×4, first 2 shown]
	s_waitcnt vmcnt(2) lgkmcnt(0)
	v_mfma_f32_32x32x8f16 a[48:63], v[6:7], v[10:11], a[48:63]
	s_waitcnt vmcnt(0)
	v_mfma_f32_32x32x8f16 a[48:63], v[8:9], v[12:13], a[48:63]
	ds_read_b128 v[6:9], v95 offset:2208
	s_waitcnt lgkmcnt(0)
	v_mfma_f32_32x32x8f16 a[32:47], v[6:7], v[10:11], a[32:47]
	v_mfma_f32_32x32x8f16 a[32:47], v[8:9], v[12:13], a[32:47]
	ds_read_b128 v[6:9], v95 offset:4384
	s_waitcnt lgkmcnt(0)
	v_mfma_f32_32x32x8f16 a[16:31], v[6:7], v[10:11], a[16:31]
	v_mfma_f32_32x32x8f16 a[16:31], v[8:9], v[12:13], a[16:31]
	ds_read_b128 v[6:9], v95 offset:6560
	;;#ASMSTART
	s_waitcnt vmcnt(0)
	;;#ASMEND
	s_barrier
	buffer_store_dword v26, off, s[0:3], s32 offset:1192 ; 4-byte Folded Spill
	s_waitcnt lgkmcnt(0)
	v_mfma_f32_32x32x8f16 a[0:15], v[6:7], v[10:11], a[0:15]
	v_mfma_f32_32x32x8f16 a[0:15], v[8:9], v[12:13], a[0:15]
.LBB1_46:                               ;   Parent Loop BB1_45 Depth=1
                                        ; =>  This Inner Loop Header: Depth=2
	v_readfirstlane_b32 s8, v22
	v_readfirstlane_b32 s9, v23
	;; [unrolled: 1-line block ×4, first 2 shown]
	v_cmp_eq_u64_e64 s[4:5], s[8:9], v[22:23]
	v_cmp_eq_u64_e64 s[6:7], s[10:11], v[44:45]
	s_and_b64 s[4:5], s[4:5], s[6:7]
	s_and_saveexec_b64 s[4:5], s[4:5]
	s_nop 0
	buffer_load_dwordx4 v[14:17], v0, s[8:11], 0 offen
                                        ; implicit-def: $vgpr0
	s_xor_b64 exec, exec, s[4:5]
	s_cbranch_execnz .LBB1_46
; %bb.47:                               ;   in Loop: Header=BB1_45 Depth=1
	s_mov_b64 exec, s[20:21]
	v_accvgpr_read_b32 v0, a68
	v_accvgpr_read_b32 v1, a104
	v_add_u32_e32 v0, v0, v1
	s_mov_b64 s[20:21], exec
.LBB1_48:                               ;   Parent Loop BB1_45 Depth=1
                                        ; =>  This Inner Loop Header: Depth=2
	v_readfirstlane_b32 s8, v22
	v_readfirstlane_b32 s9, v23
	;; [unrolled: 1-line block ×4, first 2 shown]
	v_cmp_eq_u64_e64 s[4:5], s[8:9], v[22:23]
	v_cmp_eq_u64_e64 s[6:7], s[10:11], v[44:45]
	s_and_b64 s[4:5], s[4:5], s[6:7]
	s_and_saveexec_b64 s[4:5], s[4:5]
	s_nop 0
	buffer_load_dwordx4 v[26:29], v0, s[8:11], 0 offen
                                        ; implicit-def: $vgpr0
	s_xor_b64 exec, exec, s[4:5]
	s_cbranch_execnz .LBB1_48
; %bb.49:                               ;   in Loop: Header=BB1_45 Depth=1
	s_mov_b64 exec, s[20:21]
	; sched_barrier mask(0x00000000)
	ds_read_b128 v[6:9], v95 offset:9216
	ds_read_b128 v[32:35], v95 offset:15776
	s_waitcnt lgkmcnt(1)
	v_mfma_f32_32x32x8f16 a[48:63], v[6:7], v[96:97], a[48:63]
	v_mfma_f32_32x32x8f16 a[48:63], v[8:9], v[98:99], a[48:63]
	ds_read_b128 v[6:9], v95 offset:11392
	s_waitcnt lgkmcnt(0)
	v_mfma_f32_32x32x8f16 a[32:47], v[6:7], v[96:97], a[32:47]
	v_mfma_f32_32x32x8f16 a[32:47], v[8:9], v[98:99], a[32:47]
	;; [unrolled: 4-line block ×5, first 2 shown]
	ds_read_b128 v[6:9], v95 offset:11424
	s_waitcnt lgkmcnt(0)
	v_mfma_f32_32x32x8f16 a[32:47], v[6:7], v[100:101], a[32:47]
	s_nop 7
	s_nop 7
	v_accvgpr_read_b32 v12, a48
	v_accvgpr_read_b32 v18, a50
	;; [unrolled: 1-line block ×3, first 2 shown]
	v_mul_f32_e32 v18, v92, v18
	v_mul_f32_e32 v10, v92, v10
	v_mul_f32_e32 v18, 0x4038aa3b, v18
	v_accvgpr_read_b32 v11, a51
	v_mul_f32_e32 v10, 0x4038aa3b, v10
	v_exp_f32_e32 v18, v18
	v_exp_f32_e32 v73, v10
	v_mul_f32_e32 v11, v92, v11
	v_mul_f32_e32 v11, 0x4038aa3b, v11
	v_mfma_f32_32x32x8f16 a[32:47], v[8:9], v[102:103], a[32:47]
	ds_read_b128 v[6:9], v95 offset:13600
	v_exp_f32_e32 v11, v11
	v_add_f32_e32 v18, 1.0, v18
	v_accvgpr_read_b32 v49, a52
	v_accvgpr_read_b32 v19, a53
	v_add_f32_e32 v11, 1.0, v11
	v_mul_f32_e32 v49, v92, v49
	v_mul_f32_e32 v19, v92, v19
	v_rcp_f32_e32 v74, v11
	v_mul_f32_e32 v49, 0x4038aa3b, v49
	v_mul_f32_e32 v19, 0x4038aa3b, v19
	v_exp_f32_e32 v49, v49
	v_accvgpr_read_b32 v20, a54
	v_mul_f32_e32 v20, v92, v20
	v_mul_f32_e32 v20, 0x4038aa3b, v20
	s_waitcnt lgkmcnt(0)
	v_mfma_f32_32x32x8f16 a[16:31], v[6:7], v[100:101], a[16:31]
	v_add_f32_e32 v49, 1.0, v49
	v_rcp_f32_e32 v49, v49
	v_accvgpr_read_b32 v51, a56
	v_accvgpr_read_b32 v21, a55
	v_mul_f32_e32 v51, v92, v51
	v_mul_f32_e32 v21, v92, v21
	;; [unrolled: 1-line block ×3, first 2 shown]
	v_accvgpr_read_b32 v50, a57
	v_mul_f32_e32 v21, 0x4038aa3b, v21
	v_exp_f32_e32 v51, v51
	v_mul_f32_e32 v50, v92, v50
	v_mul_f32_e32 v50, 0x4038aa3b, v50
	v_exp_f32_e32 v50, v50
	v_add_f32_e32 v51, 1.0, v51
	v_accvgpr_read_b32 v59, a58
	v_mfma_f32_32x32x8f16 a[16:31], v[8:9], v[102:103], a[16:31]
	v_mul_f32_e32 v8, v92, v12
	v_mul_f32_e32 v8, 0x4038aa3b, v8
	v_exp_f32_e32 v12, v8
	v_accvgpr_read_b32 v56, a59
	v_add_f32_e32 v50, 1.0, v50
	v_mul_f32_e32 v59, v92, v59
	v_add_f32_e32 v12, 1.0, v12
	v_rcp_f32_e32 v72, v12
	v_mul_f32_e32 v56, v92, v56
	v_mul_f32_e32 v59, 0x4038aa3b, v59
	;; [unrolled: 1-line block ×3, first 2 shown]
	v_fma_f32 v10, v72, -2.0, 1.0
	v_add_f32_e32 v72, 1.0, v73
	v_rcp_f32_e32 v73, v18
	v_rcp_f32_e32 v72, v72
	v_exp_f32_e32 v59, v59
	v_mfma_f32_32x32x8f16 a[0:15], v[32:33], v[100:101], a[0:15]
	v_fma_f32 v11, v73, -2.0, 1.0
	v_exp_f32_e32 v73, v19
	v_fma_f32 v72, v72, -2.0, 1.0
	v_mul_f32_e32 v18, v91, v72
	v_fma_f32 v72, v74, -2.0, 1.0
	v_mul_f32_e32 v19, v91, v72
	v_add_f32_e32 v72, 1.0, v73
	v_rcp_f32_e32 v72, v72
	v_exp_f32_e32 v73, v20
	v_fma_f32 v20, v49, -2.0, 1.0
	v_rcp_f32_e32 v74, v50
	v_fma_f32 v49, v72, -2.0, 1.0
	v_add_f32_e32 v72, 1.0, v73
	v_rcp_f32_e32 v72, v72
	v_exp_f32_e32 v73, v21
	v_accvgpr_read_b32 v57, a60
	v_mul_f32_e32 v57, v92, v57
	v_fma_f32 v21, v72, -2.0, 1.0
	v_add_f32_e32 v72, 1.0, v73
	v_rcp_f32_e32 v73, v51
	v_rcp_f32_e32 v72, v72
	v_add_f32_e32 v59, 1.0, v59
	v_mul_f32_e32 v57, 0x4038aa3b, v57
	v_fma_f32 v50, v73, -2.0, 1.0
	v_exp_f32_e32 v73, v56
	v_fma_f32 v72, v72, -2.0, 1.0
	v_mul_f32_e32 v51, v91, v72
	v_fma_f32 v72, v74, -2.0, 1.0
	v_mul_f32_e32 v56, v91, v72
	v_add_f32_e32 v72, 1.0, v73
	v_rcp_f32_e32 v59, v59
	v_rcp_f32_e32 v72, v72
	v_exp_f32_e32 v73, v57
	v_accvgpr_read_b32 v61, a62
	v_accvgpr_read_b32 v58, a61
	;; [unrolled: 1-line block ×3, first 2 shown]
	v_mul_f32_e32 v61, v92, v61
	v_mul_f32_e32 v58, v92, v58
	v_mul_f32_e32 v61, 0x4038aa3b, v61
	v_mul_f32_e32 v9, v92, v9
	v_accvgpr_read_b32 v60, a63
	v_accvgpr_read_b32 v42, a37
	;; [unrolled: 1-line block ×3, first 2 shown]
	v_fma_f32 v57, v59, -2.0, 1.0
	v_fma_f32 v59, v72, -2.0, 1.0
	v_add_f32_e32 v72, 1.0, v73
	v_mul_f32_e32 v58, 0x4038aa3b, v58
	v_exp_f32_e32 v61, v61
	v_mul_f32_e32 v9, 0x4038aa3b, v9
	v_rcp_f32_e32 v72, v72
	v_exp_f32_e32 v73, v58
	v_mul_f32_e32 v60, v92, v60
	v_mul_f32_e32 v42, v92, v42
	v_exp_f32_e32 v9, v9
	v_mul_f32_e32 v1, v92, v1
	v_mul_f32_e32 v60, 0x4038aa3b, v60
	;; [unrolled: 1-line block ×4, first 2 shown]
	v_exp_f32_e32 v60, v60
	v_exp_f32_e32 v42, v42
	;; [unrolled: 1-line block ×3, first 2 shown]
	v_accvgpr_read_b32 v0, a40
	v_add_f32_e32 v61, 1.0, v61
	v_fma_f32 v58, v72, -2.0, 1.0
	v_add_f32_e32 v72, 1.0, v73
	v_rcp_f32_e32 v73, v61
	v_add_f32_e32 v9, 1.0, v9
	v_mul_f32_e32 v0, v92, v0
	v_accvgpr_read_b32 v63, a32
	v_accvgpr_read_b32 v46, a33
	v_rcp_f32_e32 v9, v9
	v_mul_f32_e32 v0, 0x4038aa3b, v0
	v_rcp_f32_e32 v72, v72
	v_add_f32_e32 v60, 1.0, v60
	v_mul_f32_e32 v63, v92, v63
	v_mul_f32_e32 v46, v92, v46
	v_add_f32_e32 v42, 1.0, v42
	v_add_f32_e32 v1, 1.0, v1
	v_exp_f32_e32 v0, v0
	v_mfma_f32_32x32x8f16 a[0:15], v[34:35], v[102:103], a[0:15]
	v_rcp_f32_e32 v74, v60
	v_mul_f32_e32 v63, 0x4038aa3b, v63
	v_mul_f32_e32 v46, 0x4038aa3b, v46
	v_rcp_f32_e32 v42, v42
	v_rcp_f32_e32 v1, v1
	v_fma_f32 v60, v73, -2.0, 1.0
	v_exp_f32_e32 v63, v63
	v_exp_f32_e32 v73, v46
	v_accvgpr_read_b32 v76, a41
	v_fma_f32 v9, v9, -2.0, 1.0
	v_accvgpr_read_b32 v47, a34
	v_fma_f32 v72, v72, -2.0, 1.0
	v_mul_f32_e32 v75, v91, v9
	v_add_f32_e32 v0, 1.0, v0
	v_mul_f32_e32 v9, v92, v76
	v_accvgpr_read_b32 v108, a42
	v_mul_f32_e32 v61, v91, v72
	v_fma_f32 v72, v74, -2.0, 1.0
	v_mul_f32_e32 v47, v92, v47
	v_fma_f32 v42, v42, -2.0, 1.0
	v_fma_f32 v1, v1, -2.0, 1.0
	v_rcp_f32_e32 v0, v0
	v_mul_f32_e32 v9, 0x4038aa3b, v9
	v_mul_f32_e32 v46, v91, v72
	v_add_f32_e32 v63, 1.0, v63
	v_add_f32_e32 v72, 1.0, v73
	v_mul_f32_e32 v47, 0x4038aa3b, v47
	v_mul_f32_e32 v74, v91, v42
	v_exp_f32_e32 v42, v9
	v_mul_f32_e32 v76, v91, v1
	v_mul_f32_e32 v1, v92, v108
	v_rcp_f32_e32 v63, v63
	v_rcp_f32_e32 v72, v72
	v_exp_f32_e32 v73, v47
	v_mul_f32_e32 v1, 0x4038aa3b, v1
	v_exp_f32_e32 v1, v1
	v_accvgpr_read_b32 v62, a35
	v_accvgpr_read_b32 v43, a36
	;; [unrolled: 1-line block ×3, first 2 shown]
	v_fma_f32 v0, v0, -2.0, 1.0
	v_mul_f32_e32 v62, v92, v62
	v_mul_f32_e32 v43, v92, v43
	;; [unrolled: 1-line block ×3, first 2 shown]
	v_add_f32_e32 v0, 1.0, v42
	v_mul_f32_e32 v42, v92, v107
	v_fma_f32 v47, v63, -2.0, 1.0
	v_fma_f32 v63, v72, -2.0, 1.0
	v_add_f32_e32 v72, 1.0, v73
	v_mul_f32_e32 v62, 0x4038aa3b, v62
	v_mul_f32_e32 v43, 0x4038aa3b, v43
	;; [unrolled: 1-line block ×3, first 2 shown]
	v_rcp_f32_e32 v72, v72
	v_exp_f32_e32 v73, v62
	v_exp_f32_e32 v43, v43
	v_rcp_f32_e32 v0, v0
	v_exp_f32_e32 v42, v42
	v_add_f32_e32 v1, 1.0, v1
	v_rcp_f32_e32 v1, v1
	v_accvgpr_read_b32 v104, a46
	v_accvgpr_read_b32 v106, a44
	v_accvgpr_read_b32 v77, a45
	v_fma_f32 v62, v72, -2.0, 1.0
	v_add_f32_e32 v72, 1.0, v73
	v_add_f32_e32 v43, 1.0, v43
	v_fma_f32 v0, v0, -2.0, 1.0
	v_add_f32_e32 v42, 1.0, v42
	v_mul_f32_e32 v104, v92, v104
	v_accvgpr_read_b32 v54, a9
	v_rcp_f32_e32 v72, v72
	v_rcp_f32_e32 v43, v43
	;; [unrolled: 1-line block ×3, first 2 shown]
	v_mul_f32_e32 v42, v91, v0
	v_fma_f32 v0, v1, -2.0, 1.0
	v_mul_f32_e32 v1, v92, v106
	v_mul_f32_e32 v77, v92, v77
	;; [unrolled: 1-line block ×5, first 2 shown]
	v_exp_f32_e32 v104, v104
	v_mul_f32_e32 v54, v92, v54
	v_exp_f32_e32 v1, v1
	v_exp_f32_e32 v106, v77
	v_mul_f32_e32 v54, 0x4038aa3b, v54
	v_accvgpr_read_b32 v24, a47
	v_accvgpr_read_b32 v41, a22
	;; [unrolled: 1-line block ×4, first 2 shown]
	v_exp_f32_e32 v54, v54
	v_accvgpr_read_b32 v25, a16
	v_accvgpr_read_b32 v48, a12
	;; [unrolled: 1-line block ×3, first 2 shown]
	v_fma_f32 v72, v72, -2.0, 1.0
	v_fma_f32 v43, v43, -2.0, 1.0
	v_mul_f32_e32 v24, v92, v24
	v_mul_f32_e32 v41, v92, v41
	;; [unrolled: 1-line block ×4, first 2 shown]
	v_accvgpr_read_b32 v53, a10
	v_accvgpr_read_b32 v52, a11
	v_mul_f32_e32 v73, v91, v72
	v_mul_f32_e32 v72, v91, v43
	;; [unrolled: 1-line block ×3, first 2 shown]
	v_fma_f32 v0, v107, -2.0, 1.0
	v_add_f32_e32 v104, 1.0, v104
	v_mul_f32_e32 v24, 0x4038aa3b, v24
	v_mul_f32_e32 v25, v92, v25
	;; [unrolled: 1-line block ×8, first 2 shown]
	v_add_f32_e32 v0, 1.0, v1
	v_add_f32_e32 v1, 1.0, v106
	v_rcp_f32_e32 v104, v104
	v_exp_f32_e32 v106, v24
	v_mul_f32_e32 v25, 0x4038aa3b, v25
	v_exp_f32_e32 v41, v41
	v_exp_f32_e32 v55, v55
	v_mul_f32_e32 v53, v92, v53
	v_mul_f32_e32 v52, v92, v52
	v_mul_f32_e32 v48, 0x4038aa3b, v48
	v_exp_f32_e32 v13, v13
	v_mul_f32_e32 v12, 0x4038aa3b, v12
	v_exp_f32_e32 v25, v25
	v_add_f32_e32 v54, 1.0, v54
	v_mul_f32_e32 v53, 0x4038aa3b, v53
	v_mul_f32_e32 v52, 0x4038aa3b, v52
	v_exp_f32_e32 v48, v48
	v_exp_f32_e32 v12, v12
	v_accvgpr_read_b32 v105, a17
	v_rcp_f32_e32 v54, v54
	v_exp_f32_e32 v53, v53
	v_exp_f32_e32 v52, v52
	v_mul_f32_e32 v105, v92, v105
	v_fma_f32 v24, v104, -2.0, 1.0
	v_add_f32_e32 v104, 1.0, v106
	v_mul_f32_e32 v105, 0x4038aa3b, v105
	v_add_f32_e32 v41, 1.0, v41
	v_add_f32_e32 v55, 1.0, v55
	;; [unrolled: 1-line block ×3, first 2 shown]
	v_rcp_f32_e32 v104, v104
	v_exp_f32_e32 v105, v105
	v_add_f32_e32 v25, 1.0, v25
	v_rcp_f32_e32 v41, v41
	v_rcp_f32_e32 v55, v55
	v_add_f32_e32 v48, 1.0, v48
	v_rcp_f32_e32 v13, v13
	v_add_f32_e32 v12, 1.0, v12
	v_rcp_f32_e32 v106, v25
	v_fma_f32 v54, v54, -2.0, 1.0
	v_add_f32_e32 v53, 1.0, v53
	v_add_f32_e32 v52, 1.0, v52
	v_rcp_f32_e32 v48, v48
	v_rcp_f32_e32 v12, v12
	v_mul_f32_e32 v125, v91, v54
	v_rcp_f32_e32 v53, v53
	v_rcp_f32_e32 v54, v52
	v_fma_f32 v104, v104, -2.0, 1.0
	v_add_f32_e32 v25, 1.0, v105
	v_fma_f32 v41, v41, -2.0, 1.0
	v_fma_f32 v55, v55, -2.0, 1.0
	;; [unrolled: 1-line block ×3, first 2 shown]
	; sched_barrier mask(0x00000001)
	v_rcp_f32_e32 v105, v25
	v_mul_f32_e32 v25, v91, v104
	v_fma_f32 v104, v106, -2.0, 1.0
	v_mul_f32_e32 v106, v91, v41
	v_mul_f32_e32 v41, v91, v55
	v_fma_f32 v48, v48, -2.0, 1.0
	v_mul_f32_e32 v55, v91, v13
	v_fma_f32 v12, v12, -2.0, 1.0
	buffer_load_dword v13, off, s[0:3], s32 offset:1136 ; 4-byte Folded Reload
	v_fma_f32 v52, v53, -2.0, 1.0
	v_fma_f32 v53, v54, -2.0, 1.0
	v_mul_f32_e32 v54, v91, v48
	v_mul_f32_e32 v48, v91, v12
	buffer_load_dword v12, off, s[0:3], s32 offset:1424 ; 4-byte Folded Reload
	v_accvgpr_read_b32 v113, a26
	v_mul_f32_e32 v113, v92, v113
	v_mul_f32_e32 v113, 0x4038aa3b, v113
	v_exp_f32_e32 v113, v113
	v_accvgpr_read_b32 v112, a27
	v_accvgpr_read_b32 v6, a29
	v_mul_f32_e32 v112, v92, v112
	v_mul_f32_e32 v112, 0x4038aa3b, v112
	;; [unrolled: 1-line block ×3, first 2 shown]
	v_add_f32_e32 v113, 1.0, v113
	v_exp_f32_e32 v112, v112
	v_mul_f32_e32 v6, 0x4038aa3b, v6
	v_rcp_f32_e32 v113, v113
	v_exp_f32_e32 v6, v6
	v_add_f32_e32 v112, 1.0, v112
	v_rcp_f32_e32 v112, v112
	v_fma_f32 v113, v113, -2.0, 1.0
	v_add_f32_e32 v6, 1.0, v6
	v_mul_f32_e32 v108, v91, v113
	v_rcp_f32_e32 v113, v6
	v_accvgpr_read_b32 v33, a30
	v_accvgpr_read_b32 v30, a31
	v_mul_f32_e32 v33, v92, v33
	v_mul_f32_e32 v30, v92, v30
	v_fma_f32 v112, v112, -2.0, 1.0
	v_mul_f32_e32 v33, 0x4038aa3b, v33
	v_mul_f32_e32 v30, 0x4038aa3b, v30
	v_mul_f32_e32 v6, v91, v112
	v_fma_f32 v112, v113, -2.0, 1.0
	v_exp_f32_e32 v33, v33
	v_exp_f32_e32 v113, v30
	v_accvgpr_read_b32 v31, a0
	v_mul_f32_e32 v31, v92, v31
	v_mul_f32_e32 v30, v91, v112
	v_add_f32_e32 v33, 1.0, v33
	v_add_f32_e32 v112, 1.0, v113
	v_mul_f32_e32 v31, 0x4038aa3b, v31
	v_rcp_f32_e32 v33, v33
	v_rcp_f32_e32 v112, v112
	v_exp_f32_e32 v113, v31
	v_accvgpr_read_b32 v32, a1
	v_accvgpr_read_b32 v34, a3
	v_mul_f32_e32 v32, v92, v32
	v_fma_f32 v31, v33, -2.0, 1.0
	v_fma_f32 v33, v112, -2.0, 1.0
	v_add_f32_e32 v112, 1.0, v113
	v_mul_f32_e32 v32, 0x4038aa3b, v32
	v_mul_f32_e32 v34, v92, v34
	v_rcp_f32_e32 v112, v112
	v_exp_f32_e32 v113, v32
	v_mul_f32_e32 v34, 0x4038aa3b, v34
	v_exp_f32_e32 v34, v34
	v_mul_f32_e32 v32, v91, v33
	v_fma_f32 v33, v112, -2.0, 1.0
	v_add_f32_e32 v112, 1.0, v113
	v_rcp_f32_e32 v112, v112
	v_add_f32_e32 v34, 1.0, v34
	v_rcp_f32_e32 v113, v34
	v_accvgpr_read_b32 v39, a4
	v_accvgpr_read_b32 v36, a5
	v_mul_f32_e32 v39, v92, v39
	v_mul_f32_e32 v36, v92, v36
	v_fma_f32 v112, v112, -2.0, 1.0
	v_mul_f32_e32 v39, 0x4038aa3b, v39
	v_mul_f32_e32 v36, 0x4038aa3b, v36
	;; [unrolled: 1-line block ×3, first 2 shown]
	v_fma_f32 v112, v113, -2.0, 1.0
	v_exp_f32_e32 v39, v39
	v_exp_f32_e32 v113, v36
	v_accvgpr_read_b32 v37, a6
	v_mul_f32_e32 v37, v92, v37
	v_mul_f32_e32 v36, v91, v112
	v_add_f32_e32 v39, 1.0, v39
	v_add_f32_e32 v112, 1.0, v113
	v_mul_f32_e32 v37, 0x4038aa3b, v37
	v_rcp_f32_e32 v39, v39
	v_rcp_f32_e32 v112, v112
	v_exp_f32_e32 v113, v37
	v_accvgpr_read_b32 v40, a23
	v_accvgpr_read_b32 v38, a7
	v_mul_f32_e32 v40, v92, v40
	v_mul_f32_e32 v38, v92, v38
	;; [unrolled: 1-line block ×3, first 2 shown]
	v_fma_f32 v37, v39, -2.0, 1.0
	v_fma_f32 v39, v112, -2.0, 1.0
	v_add_f32_e32 v112, 1.0, v113
	v_mul_f32_e32 v38, 0x4038aa3b, v38
	v_exp_f32_e32 v40, v40
	v_rcp_f32_e32 v112, v112
	v_exp_f32_e32 v113, v38
	v_mul_f32_e32 v38, v91, v39
	v_add_f32_e32 v40, 1.0, v40
	v_fma_f32 v39, v112, -2.0, 1.0
	v_add_f32_e32 v112, 1.0, v113
	v_rcp_f32_e32 v40, v40
	v_rcp_f32_e32 v112, v112
	v_accvgpr_read_b32 v89, a18
	v_accvgpr_read_b32 v88, a19
	v_fma_f32 v40, v40, -2.0, 1.0
	v_fma_f32 v112, v112, -2.0, 1.0
	v_mul_f32_e32 v107, v91, v40
	v_mul_f32_e32 v40, v91, v112
	s_waitcnt vmcnt(1)
	v_add_u32_e32 v112, 0x80, v13
	s_waitcnt vmcnt(0)
	v_cmp_gt_i32_e64 s[4:5], v112, v12
	buffer_load_dword v12, off, s[0:3], s32 offset:1324 ; 4-byte Folded Reload
	v_accvgpr_read_b32 v79, a20
	v_accvgpr_read_b32 v78, a21
	;; [unrolled: 1-line block ×7, first 2 shown]
	v_mul_f32_e32 v89, v92, v89
	v_mul_f32_e32 v88, v92, v88
	;; [unrolled: 1-line block ×18, first 2 shown]
	v_exp_f32_e32 v89, v89
	v_exp_f32_e32 v88, v88
	;; [unrolled: 1-line block ×9, first 2 shown]
	v_mul_f32_e32 v110, v91, v104
	v_fma_f32 v104, v105, -2.0, 1.0
	v_add_f32_e32 v89, 1.0, v89
	v_add_f32_e32 v88, 1.0, v88
	;; [unrolled: 1-line block ×9, first 2 shown]
	v_rcp_f32_e32 v0, v0
	v_rcp_f32_e32 v1, v1
	v_mul_f32_e32 v111, v91, v104
	v_rcp_f32_e32 v89, v89
	v_rcp_f32_e32 v104, v88
	;; [unrolled: 1-line block ×9, first 2 shown]
	v_fma_f32 v0, v0, -2.0, 1.0
	v_fma_f32 v1, v1, -2.0, 1.0
	;; [unrolled: 1-line block ×11, first 2 shown]
	v_mul_f32_e32 v10, v91, v10
	v_mul_f32_e32 v11, v91, v11
	;; [unrolled: 1-line block ×11, first 2 shown]
	s_waitcnt vmcnt(0)
	v_add_u32_e32 v12, v13, v12
	v_accvgpr_read_b32 v13, a92
	v_min_i32_e32 v12, v12, v13
	v_cmp_gt_i32_e64 s[6:7], s28, v12
	v_mul_f32_e32 v63, v91, v63
	v_mul_f32_e32 v62, v91, v62
	;; [unrolled: 1-line block ×20, first 2 shown]
	s_or_b64 s[4:5], s[4:5], s[6:7]
	buffer_store_dword v112, off, s[0:3], s32 offset:1332 ; 4-byte Folded Spill
	s_and_saveexec_b64 s[10:11], s[4:5]
	s_cbranch_execz .LBB1_51
; %bb.50:                               ;   in Loop: Header=BB1_45 Depth=1
	buffer_load_dword v12, off, s[0:3], s32 offset:1072 ; 4-byte Folded Reload
	s_waitcnt vmcnt(0)
	v_readfirstlane_b32 s4, v12
	buffer_load_dword v12, off, s[0:3], s32 offset:1080 ; 4-byte Folded Reload
	s_waitcnt vmcnt(0)
	v_lshl_add_u32 v113, s4, 5, v12
	buffer_load_dword v115, off, s[0:3], s32 offset:1136 ; 4-byte Folded Reload
	buffer_load_dword v12, off, s[0:3], s32 offset:1564 ; 4-byte Folded Reload
	;; [unrolled: 1-line block ×5, first 2 shown]
	s_waitcnt vmcnt(3)
	v_add_u32_e32 v12, v115, v12
	s_waitcnt vmcnt(2)
	v_sub_u32_e32 v13, v113, v13
	s_waitcnt vmcnt(1)
	v_add_u32_e32 v112, v112, v113
	s_waitcnt vmcnt(0)
	v_min_i32_e32 v112, v112, v114
	v_accvgpr_read_b32 v114, a92
	v_cmp_gt_i32_e64 s[4:5], v114, v113
	buffer_load_dword v113, off, s[0:3], s32 offset:1536 ; 4-byte Folded Reload
	v_cmp_gt_i32_e64 s[8:9], v112, v12
	v_cmp_lt_i32_e64 s[6:7], v13, v12
	s_and_b64 s[8:9], s[8:9], s[4:5]
	s_and_b64 s[6:7], s[8:9], s[6:7]
	v_cndmask_b32_e64 v10, v93, v10, s[6:7]
	s_waitcnt vmcnt(0)
	v_add_u32_e32 v113, v115, v113
	v_cmp_lt_i32_e64 s[6:7], v13, v113
	v_cmp_gt_i32_e64 s[8:9], v112, v113
	buffer_load_dword v113, off, s[0:3], s32 offset:1540 ; 4-byte Folded Reload
	s_and_b64 s[8:9], s[8:9], s[4:5]
	s_and_b64 s[6:7], s[8:9], s[6:7]
	v_cndmask_b32_e64 v18, v93, v18, s[6:7]
	s_waitcnt vmcnt(0)
	v_add_u32_e32 v113, v115, v113
	v_cmp_lt_i32_e64 s[6:7], v13, v113
	v_cmp_gt_i32_e64 s[8:9], v112, v113
	buffer_load_dword v113, off, s[0:3], s32 offset:1544 ; 4-byte Folded Reload
	;; [unrolled: 8-line block ×6, first 2 shown]
	s_and_b64 s[8:9], s[8:9], s[4:5]
	s_and_b64 s[6:7], s[8:9], s[6:7]
	v_cndmask_b32_e64 v21, v93, v21, s[6:7]
	s_waitcnt vmcnt(0)
	v_add_u32_e32 v113, v115, v113
	v_cmp_gt_i32_e64 s[8:9], v112, v113
	v_cmp_lt_i32_e64 s[6:7], v13, v113
	s_and_b64 s[8:9], s[8:9], s[4:5]
	v_add_u32_e32 v113, 16, v12
	s_and_b64 s[6:7], s[8:9], s[6:7]
	v_cmp_gt_i32_e64 s[8:9], v112, v113
	v_cndmask_b32_e64 v51, v93, v51, s[6:7]
	v_cmp_lt_i32_e64 s[6:7], v13, v113
	s_and_b64 s[8:9], s[8:9], s[4:5]
	v_add_u32_e32 v113, 17, v12
	s_and_b64 s[6:7], s[8:9], s[6:7]
	v_cmp_gt_i32_e64 s[8:9], v112, v113
	v_cndmask_b32_e64 v50, v93, v50, s[6:7]
	;; [unrolled: 6-line block ×56, first 2 shown]
	v_cmp_lt_i32_e64 s[6:7], v13, v12
	s_and_b64 s[4:5], s[8:9], s[4:5]
	s_and_b64 s[4:5], s[4:5], s[6:7]
	v_cndmask_b32_e64 v48, v93, v48, s[4:5]
.LBB1_51:                               ;   in Loop: Header=BB1_45 Depth=1
	s_or_b64 exec, exec, s[10:11]
	buffer_load_dword v13, off, s[0:3], s32 offset:1100 ; 4-byte Folded Reload
	v_perm_b32 v112, v14, v26, s45
	v_perm_b32 v14, v14, v26, s46
	;; [unrolled: 1-line block ×8, first 2 shown]
	buffer_load_dword v29, off, s[0:3], s32 offset:1072 ; 4-byte Folded Reload
	v_max3_f32 v12, v10, s27, v18
	v_max3_f32 v12, v12, v11, v19
	;; [unrolled: 1-line block ×32, first 2 shown]
	s_mov_b64 s[20:21], exec
	buffer_load_dword v113, off, s[0:3], s32 offset:1104 ; 4-byte Folded Reload
	s_waitcnt vmcnt(2)
	ds_bpermute_b32 v13, v13, v12
	; sched_barrier mask(0x0000007F)
	s_waitcnt vmcnt(1)
	v_readfirstlane_b32 s22, v29
	buffer_load_dword v29, off, s[0:3], s32 offset:1096 ; 4-byte Folded Reload
	s_waitcnt vmcnt(0)
	v_add_u32_e32 v29, s22, v29
	v_mul_lo_u32 v29, v29, s30
	v_add_lshl_u32 v29, v29, v113, 1
	ds_write2_b32 v29, v112, v14 offset1:4
	ds_write2_b32 v29, v26, v15 offset0:8 offset1:12
	ds_write2_b32 v29, v27, v16 offset0:16 offset1:20
	;; [unrolled: 1-line block ×3, first 2 shown]
	v_accvgpr_read_b32 v14, a65
	s_waitcnt lgkmcnt(4)
	v_max3_f32 v26, v14, v12, v13
	v_accvgpr_read_b32 v12, a68
	v_accvgpr_read_b32 v13, a102
	v_add_u32_e32 v12, v12, v13
.LBB1_52:                               ;   Parent Loop BB1_45 Depth=1
                                        ; =>  This Inner Loop Header: Depth=2
	v_readfirstlane_b32 s8, v22
	v_readfirstlane_b32 s9, v23
	;; [unrolled: 1-line block ×4, first 2 shown]
	v_cmp_eq_u64_e64 s[4:5], s[8:9], v[22:23]
	v_cmp_eq_u64_e64 s[6:7], s[10:11], v[44:45]
	s_and_b64 s[4:5], s[4:5], s[6:7]
	s_and_saveexec_b64 s[4:5], s[4:5]
	s_nop 0
	buffer_load_dwordx4 v[14:17], v12, s[8:11], 0 offen
                                        ; implicit-def: $vgpr12
	s_xor_b64 exec, exec, s[4:5]
	s_cbranch_execnz .LBB1_52
; %bb.53:                               ;   in Loop: Header=BB1_45 Depth=1
	s_mov_b64 exec, s[20:21]
	v_accvgpr_read_b32 v12, a68
	v_accvgpr_read_b32 v13, a71
	v_add_u32_e32 v12, v12, v13
	s_mov_b64 s[20:21], exec
.LBB1_54:                               ;   Parent Loop BB1_45 Depth=1
                                        ; =>  This Inner Loop Header: Depth=2
	v_readfirstlane_b32 s8, v22
	v_readfirstlane_b32 s9, v23
	;; [unrolled: 1-line block ×4, first 2 shown]
	v_cmp_eq_u64_e64 s[4:5], s[8:9], v[22:23]
	v_cmp_eq_u64_e64 s[6:7], s[10:11], v[44:45]
	s_and_b64 s[4:5], s[4:5], s[6:7]
	s_and_saveexec_b64 s[4:5], s[4:5]
	s_nop 0
	buffer_load_dwordx4 v[112:115], v12, s[8:11], 0 offen
                                        ; implicit-def: $vgpr12
	s_xor_b64 exec, exec, s[4:5]
	s_cbranch_execnz .LBB1_54
; %bb.55:                               ;   in Loop: Header=BB1_45 Depth=1
	s_mov_b64 exec, s[20:21]
	; sched_barrier mask(0x00000000)
	v_cmp_neq_f32_e64 s[4:5], s27, v26
	v_accvgpr_write_b32 a103, v26
	v_cndmask_b32_e64 v26, 0, v26, s[4:5]
	v_sub_f32_e32 v10, v10, v26
	v_exp_f32_e32 v121, v10
	v_sub_f32_e32 v10, v18, v26
	v_exp_f32_e32 v124, v10
	;; [unrolled: 2-line block ×19, first 2 shown]
	v_sub_f32_e32 v10, v73, v26
	v_sub_f32_e32 v9, v9, v26
	v_exp_f32_e32 v51, v10
	v_sub_f32_e32 v10, v72, v26
	v_exp_f32_e32 v72, v9
	;; [unrolled: 2-line block ×4, first 2 shown]
	v_sub_f32_e32 v9, v77, v26
	v_sub_f32_e32 v6, v6, v26
	v_exp_f32_e32 v50, v10
	v_sub_f32_e32 v10, v74, v26
	v_exp_f32_e32 v61, v9
	v_exp_f32_e32 v9, v6
	v_sub_f32_e32 v6, v7, v26
	v_exp_f32_e32 v46, v10
	v_sub_f32_e32 v10, v75, v26
	;; [unrolled: 2-line block ×20, first 2 shown]
	v_exp_f32_e32 v73, v10
	v_exp_f32_e32 v10, v6
	v_sub_f32_e32 v6, v8, v26
	v_exp_f32_e32 v7, v6
	v_sub_f32_e32 v6, v48, v26
	v_exp_f32_e32 v125, v6
	v_add_f32_e32 v6, v121, v124
	v_add_f32_e32 v6, v123, v6
	v_add_f32_e32 v6, v122, v6
	v_add_f32_e32 v6, v109, v6
	v_add_f32_e32 v6, v13, v6
	v_add_f32_e32 v6, v12, v6
	v_add_f32_e32 v6, v120, v6
	v_add_f32_e32 v6, v69, v6
	v_accvgpr_write_b32 a127, v69
	v_mov_b32_e32 v69, v70
	v_mov_b32_e32 v70, v71
	v_add_f32_e32 v6, v80, v6
	v_add_f32_e32 v6, v70, v6
	v_add_f32_e32 v6, v69, v6
	v_accvgpr_write_b32 a122, v65
	v_add_f32_e32 v6, v65, v6
	v_mov_b32_e32 v65, v66
	v_mov_b32_e32 v66, v67
	;; [unrolled: 1-line block ×3, first 2 shown]
	v_add_f32_e32 v6, v67, v6
	v_add_f32_e32 v6, v66, v6
	;; [unrolled: 1-line block ×10, first 2 shown]
	v_sub_f32_e32 v0, v0, v26
	v_add_f32_e32 v6, v73, v6
	v_exp_f32_e32 v60, v0
	v_sub_f32_e32 v0, v1, v26
	v_add_f32_e32 v6, v72, v6
	v_exp_f32_e32 v59, v0
	;; [unrolled: 3-line block ×15, first 2 shown]
	v_add_f32_e32 v6, v110, v6
	v_add_f32_e32 v6, v25, v6
	;; [unrolled: 1-line block ×5, first 2 shown]
	v_accvgpr_write_b32 a121, v50
	v_mov_b32_e32 v50, v75
	v_add_f32_e32 v6, v9, v6
	v_add_f32_e32 v6, v50, v6
	v_add_f32_e32 v6, v83, v6
	v_add_f32_e32 v6, v82, v6
	v_add_f32_e32 v6, v81, v6
	v_add_f32_e32 v6, v56, v6
	v_add_f32_e32 v6, v33, v6
	v_add_f32_e32 v6, v32, v6
	v_add_f32_e32 v6, v31, v6
	v_add_f32_e32 v6, v30, v6
	v_add_f32_e32 v6, v29, v6
	v_add_f32_e32 v6, v28, v6
	v_add_f32_e32 v6, v27, v6
	v_add_f32_e32 v6, v21, v6
	v_add_f32_e32 v6, v20, v6
	v_add_f32_e32 v6, v19, v6
	v_add_f32_e32 v6, v18, v6
	v_add_f32_e32 v6, v11, v6
	v_add_f32_e32 v6, v10, v6
	v_add_f32_e32 v6, v7, v6
	buffer_store_dword v7, off, s[0:3], s32 offset:1196 ; 4-byte Folded Spill
	v_add_f32_e32 v7, v125, v6
	buffer_load_dword v6, off, s[0:3], s32 offset:1100 ; 4-byte Folded Reload
	buffer_load_dword v8, off, s[0:3], s32 offset:1436 ; 4-byte Folded Reload
	s_add_i32 s7, s22, s29
	buffer_store_dword v21, off, s[0:3], s32 offset:1280 ; 4-byte Folded Spill
	buffer_store_dword v20, off, s[0:3], s32 offset:1276 ; 4-byte Folded Spill
	;; [unrolled: 1-line block ×7, first 2 shown]
	s_lshl_b32 s6, s22, 8
	v_accvgpr_write_b32 a126, v29
	v_mov_b32_e32 v68, v28
	v_accvgpr_write_b32 a74, v31
	v_accvgpr_write_b32 a75, v30
	;; [unrolled: 1-line block ×5, first 2 shown]
	v_mov_b32_e32 v64, v27
	v_accvgpr_write_b32 a117, v74
	v_accvgpr_write_b32 a99, v57
	;; [unrolled: 1-line block ×15, first 2 shown]
	s_waitcnt vmcnt(8)
	ds_bpermute_b32 v6, v6, v7
	s_waitcnt lgkmcnt(0)
	v_accvgpr_write_b32 a105, v6
	buffer_load_dword v6, off, s[0:3], s32 offset:1488 ; 4-byte Folded Reload
	s_waitcnt vmcnt(0)
	v_add_u32_e32 v7, s26, v6
	buffer_load_dword v6, off, s[0:3], s32 offset:1444 ; 4-byte Folded Reload
	buffer_load_dword v18, off, s[0:3], s32 offset:1492 ; 4-byte Folded Reload
	;; [unrolled: 1-line block ×5, first 2 shown]
	v_ashrrev_i32_e32 v7, 5, v7
	s_waitcnt vmcnt(4)
	v_or_b32_e32 v6, s6, v6
	s_waitcnt vmcnt(3)
	v_mad_u64_u32 v[10:11], s[4:5], v18, s47, 0
	buffer_load_dword v18, off, s[0:3], s32 offset:1508 ; 4-byte Folded Reload
	buffer_load_dword v19, off, s[0:3], s32 offset:1512 ; 4-byte Folded Reload
	;; [unrolled: 1-line block ×6, first 2 shown]
	s_mul_hi_u32 s4, s7, 0xcd9e8d57
	s_xor_b32 s4, s13, s4
	v_add_u32_e32 v6, v6, v8
	s_waitcnt vmcnt(5)
	v_xor_b32_e32 v18, v7, v11
	s_mul_i32 s7, s7, 0xcd9e8d57
	s_waitcnt vmcnt(3)
	v_xor_b32_e32 v20, s15, v18
	s_xor_b32 s50, s7, s34
	v_xor_b32_e32 v8, s4, v19
	v_mad_u64_u32 v[18:19], s[4:5], v8, s47, 0
	v_mad_u64_u32 v[28:29], s[4:5], v20, s48, 0
	v_xor_b32_e32 v19, s35, v19
	v_xor_b32_e32 v8, s50, v29
	;; [unrolled: 1-line block ×3, first 2 shown]
	v_mad_u64_u32 v[30:31], s[4:5], v8, s47, 0
	s_waitcnt vmcnt(2)
	v_mad_u64_u32 v[20:21], s[4:5], v10, s48, 0
	v_xor_b32_e32 v8, s36, v21
	v_xor_b32_e32 v19, s37, v31
	v_xor_b32_e32 v10, v8, v28
	v_xor_b32_e32 v19, v19, v18
	v_mad_u64_u32 v[28:29], s[4:5], v10, s47, 0
	v_mad_u64_u32 v[32:33], s[4:5], v19, s48, 0
	v_xor_b32_e32 v10, s38, v33
	v_xor_b32_e32 v19, s39, v29
	v_xor_b32_e32 v10, v10, v20
	v_xor_b32_e32 v19, v19, v30
	v_mad_u64_u32 v[30:31], s[4:5], v10, s47, 0
	;; [unrolled: 6-line block ×4, first 2 shown]
	v_mad_u64_u32 v[34:35], s[4:5], v19, s48, 0
	v_xor_b32_e32 v10, v35, v32
	v_xor_b32_e32 v19, v31, v28
	s_waitcnt vmcnt(1)
	v_or_b32_e32 v36, s6, v36
	v_xor_b32_e32 v10, s31, v10
	v_xor_b32_e32 v19, s44, v19
	s_waitcnt vmcnt(0)
	v_add_u32_e32 v36, v37, v36
	v_lshrrev_b32_e32 v21, 8, v10
	v_lshrrev_b32_e32 v27, 24, v10
	;; [unrolled: 1-line block ×8, first 2 shown]
	ds_write_b8 v36, v10
	ds_write_b8 v36, v21 offset:8
	ds_write_b8_d16_hi v36, v10 offset:16
	ds_write_b8 v36, v27 offset:24
	ds_write_b8 v36, v34 offset:32
	ds_write_b8 v36, v28 offset:40
	ds_write_b8_d16_hi v36, v34 offset:48
	ds_write_b8 v36, v29 offset:56
	ds_write_b8 v36, v19 offset:128
	;; [unrolled: 4-line block ×3, first 2 shown]
	ds_write_b8 v36, v33 offset:168
	ds_write_b8_d16_hi v36, v30 offset:176
	ds_write_b8 v36, v35 offset:184
	s_waitcnt lgkmcnt(0)
	s_barrier
	buffer_load_dword v10, off, s[0:3], s32 offset:1448 ; 4-byte Folded Reload
	s_waitcnt vmcnt(0)
	v_add_u32_e32 v10, v10, v6
	ds_read_b64 v[74:75], v6 offset:27648
	ds_read_b64 v[56:57], v10 offset:27648
	s_waitcnt lgkmcnt(0)
	s_barrier
	s_and_saveexec_b64 s[20:21], vcc
	s_cbranch_execz .LBB1_61
; %bb.56:                               ;   in Loop: Header=BB1_45 Depth=1
	buffer_load_dword v19, off, s[0:3], s32 offset:1072 ; 4-byte Folded Reload
	buffer_load_dword v21, off, s[0:3], s32 offset:1092 ; 4-byte Folded Reload
	v_accvgpr_read_b32 v27, a92
	s_mov_b64 s[22:23], exec
	s_waitcnt vmcnt(1)
	v_readfirstlane_b32 s4, v19
	buffer_load_dword v19, off, s[0:3], s32 offset:1080 ; 4-byte Folded Reload
	s_waitcnt vmcnt(0)
	v_lshl_add_u32 v19, s4, 5, v19
	v_cmp_le_i32_e64 s[4:5], v27, v19
	v_mul_lo_u32 v21, v19, v21
	v_cndmask_b32_e64 v19, 0, 1, s[4:5]
	v_lshl_add_u32 v19, v19, 31, v21
	buffer_load_dword v21, off, s[0:3], s32 offset:1132 ; 4-byte Folded Reload
	s_waitcnt vmcnt(0)
	v_add3_u32 v19, v21, s26, v19
.LBB1_57:                               ;   Parent Loop BB1_45 Depth=1
                                        ; =>  This Inner Loop Header: Depth=2
	v_readfirstlane_b32 s8, v118
	v_readfirstlane_b32 s9, v119
	;; [unrolled: 1-line block ×4, first 2 shown]
	v_cmp_eq_u64_e64 s[4:5], s[8:9], v[118:119]
	v_cmp_eq_u64_e64 s[6:7], s[10:11], v[116:117]
	s_and_b64 s[4:5], s[4:5], s[6:7]
	s_and_saveexec_b64 s[4:5], s[4:5]
	s_nop 0
	buffer_store_dwordx2 v[74:75], v19, s[8:11], 0 offen
	s_xor_b64 exec, exec, s[4:5]
	s_cbranch_execnz .LBB1_57
; %bb.58:                               ;   in Loop: Header=BB1_45 Depth=1
	s_mov_b64 exec, s[22:23]
	s_mov_b64 s[22:23], exec
.LBB1_59:                               ;   Parent Loop BB1_45 Depth=1
                                        ; =>  This Inner Loop Header: Depth=2
	v_readfirstlane_b32 s8, v118
	v_readfirstlane_b32 s9, v119
	;; [unrolled: 1-line block ×4, first 2 shown]
	v_cmp_eq_u64_e64 s[4:5], s[8:9], v[118:119]
	v_cmp_eq_u64_e64 s[6:7], s[10:11], v[116:117]
	s_and_b64 s[4:5], s[4:5], s[6:7]
	s_and_saveexec_b64 s[4:5], s[4:5]
	s_nop 0
	buffer_store_dwordx2 v[56:57], v19, s[8:11], 0 offen offset:16
                                        ; implicit-def: $vgpr19
	s_xor_b64 exec, exec, s[4:5]
	s_cbranch_execnz .LBB1_59
; %bb.60:                               ;   in Loop: Header=BB1_45 Depth=1
	s_mov_b64 exec, s[22:23]
.LBB1_61:                               ;   in Loop: Header=BB1_45 Depth=1
	s_or_b64 exec, exec, s[20:21]
	buffer_load_dword v108, off, s[0:3], s32 offset:1072 ; 4-byte Folded Reload
	buffer_load_dword v37, off, s[0:3], s32 offset:1076 ; 4-byte Folded Reload
	v_or_b32_e32 v19, 1, v7
	v_xor_b32_e32 v19, v19, v11
	v_xor_b32_e32 v19, s15, v19
	v_mad_u64_u32 v[28:29], s[4:5], v19, s48, 0
	v_xor_b32_e32 v19, s50, v29
	v_mad_u64_u32 v[30:31], s[4:5], v19, s47, 0
	v_xor_b32_e32 v21, s37, v31
	v_xor_b32_e32 v19, v8, v28
	v_xor_b32_e32 v21, v21, v18
	v_mad_u64_u32 v[28:29], s[4:5], v19, s47, 0
	v_mad_u64_u32 v[32:33], s[4:5], v21, s48, 0
	v_xor_b32_e32 v19, s38, v33
	v_xor_b32_e32 v21, s39, v29
	v_xor_b32_e32 v19, v19, v20
	v_xor_b32_e32 v21, v21, v30
	v_mad_u64_u32 v[30:31], s[4:5], v19, s47, 0
	v_mad_u64_u32 v[34:35], s[4:5], v21, s48, 0
	v_xor_b32_e32 v19, s40, v35
	;; [unrolled: 6-line block ×4, first 2 shown]
	v_xor_b32_e32 v21, v31, v28
	v_xor_b32_e32 v19, s31, v19
	;; [unrolled: 1-line block ×3, first 2 shown]
	v_lshrrev_b32_e32 v27, 8, v19
	v_lshrrev_b32_e32 v28, 24, v19
	;; [unrolled: 1-line block ×8, first 2 shown]
	s_waitcnt vmcnt(1)
	v_readfirstlane_b32 s4, v108
	s_waitcnt vmcnt(0)
	v_lshl_add_u32 v37, s4, 8, v37
	ds_write_b8 v37, v19
	ds_write_b8 v37, v27 offset:8
	ds_write_b8_d16_hi v37, v19 offset:16
	ds_write_b8 v37, v28 offset:24
	ds_write_b8 v37, v34 offset:32
	ds_write_b8 v37, v29 offset:40
	ds_write_b8_d16_hi v37, v34 offset:48
	ds_write_b8 v37, v31 offset:56
	ds_write_b8 v37, v21 offset:128
	ds_write_b8 v37, v32 offset:136
	ds_write_b8_d16_hi v37, v21 offset:144
	ds_write_b8 v37, v33 offset:152
	ds_write_b8 v37, v30 offset:160
	ds_write_b8 v37, v35 offset:168
	ds_write_b8_d16_hi v37, v30 offset:176
	ds_write_b8 v37, v36 offset:184
	s_waitcnt lgkmcnt(0)
	s_barrier
	ds_read_b64 v[60:61], v6 offset:27648
	ds_read_b64 v[58:59], v10 offset:27648
	s_waitcnt lgkmcnt(0)
	s_barrier
	s_and_saveexec_b64 s[20:21], vcc
	s_cbranch_execz .LBB1_67
; %bb.62:                               ;   in Loop: Header=BB1_45 Depth=1
	buffer_load_dword v19, off, s[0:3], s32 offset:1080 ; 4-byte Folded Reload
	buffer_load_dword v21, off, s[0:3], s32 offset:1092 ; 4-byte Folded Reload
	v_readfirstlane_b32 s4, v108
	v_accvgpr_read_b32 v27, a92
	s_mov_b64 s[22:23], exec
	s_waitcnt vmcnt(1)
	v_lshl_add_u32 v19, s4, 5, v19
	v_cmp_le_i32_e64 s[4:5], v27, v19
	s_waitcnt vmcnt(0)
	v_mul_lo_u32 v21, v19, v21
	v_cndmask_b32_e64 v19, 0, 1, s[4:5]
	v_lshl_add_u32 v19, v19, 31, v21
	buffer_load_dword v21, off, s[0:3], s32 offset:1132 ; 4-byte Folded Reload
	s_waitcnt vmcnt(0)
	v_add3_u32 v19, v21, s26, v19
.LBB1_63:                               ;   Parent Loop BB1_45 Depth=1
                                        ; =>  This Inner Loop Header: Depth=2
	v_readfirstlane_b32 s8, v118
	v_readfirstlane_b32 s9, v119
	;; [unrolled: 1-line block ×4, first 2 shown]
	v_cmp_eq_u64_e64 s[4:5], s[8:9], v[118:119]
	v_cmp_eq_u64_e64 s[6:7], s[10:11], v[116:117]
	s_and_b64 s[4:5], s[4:5], s[6:7]
	s_and_saveexec_b64 s[4:5], s[4:5]
	s_nop 0
	buffer_store_dwordx2 v[60:61], v19, s[8:11], 0 offen offset:32
	s_xor_b64 exec, exec, s[4:5]
	s_cbranch_execnz .LBB1_63
; %bb.64:                               ;   in Loop: Header=BB1_45 Depth=1
	s_mov_b64 exec, s[22:23]
	s_mov_b64 s[22:23], exec
.LBB1_65:                               ;   Parent Loop BB1_45 Depth=1
                                        ; =>  This Inner Loop Header: Depth=2
	v_readfirstlane_b32 s8, v118
	v_readfirstlane_b32 s9, v119
	v_readfirstlane_b32 s10, v116
	v_readfirstlane_b32 s11, v117
	v_cmp_eq_u64_e64 s[4:5], s[8:9], v[118:119]
	v_cmp_eq_u64_e64 s[6:7], s[10:11], v[116:117]
	s_and_b64 s[4:5], s[4:5], s[6:7]
	s_and_saveexec_b64 s[4:5], s[4:5]
	s_nop 0
	buffer_store_dwordx2 v[58:59], v19, s[8:11], 0 offen offset:48
                                        ; implicit-def: $vgpr19
	s_xor_b64 exec, exec, s[4:5]
	s_cbranch_execnz .LBB1_65
; %bb.66:                               ;   in Loop: Header=BB1_45 Depth=1
	s_mov_b64 exec, s[22:23]
	buffer_load_dword v108, off, s[0:3], s32 offset:1072 ; 4-byte Folded Reload
.LBB1_67:                               ;   in Loop: Header=BB1_45 Depth=1
	s_or_b64 exec, exec, s[20:21]
	buffer_load_dword v37, off, s[0:3], s32 offset:1076 ; 4-byte Folded Reload
	v_or_b32_e32 v19, 2, v7
	v_xor_b32_e32 v19, v19, v11
	v_xor_b32_e32 v19, s15, v19
	v_mad_u64_u32 v[28:29], s[4:5], v19, s48, 0
	v_xor_b32_e32 v19, s50, v29
	v_mad_u64_u32 v[30:31], s[4:5], v19, s47, 0
	v_xor_b32_e32 v21, s37, v31
	v_xor_b32_e32 v19, v8, v28
	v_xor_b32_e32 v21, v21, v18
	v_mad_u64_u32 v[28:29], s[4:5], v19, s47, 0
	v_mad_u64_u32 v[32:33], s[4:5], v21, s48, 0
	v_xor_b32_e32 v19, s38, v33
	v_xor_b32_e32 v21, s39, v29
	v_xor_b32_e32 v19, v19, v20
	v_xor_b32_e32 v21, v21, v30
	v_mad_u64_u32 v[30:31], s[4:5], v19, s47, 0
	v_mad_u64_u32 v[34:35], s[4:5], v21, s48, 0
	v_xor_b32_e32 v19, s40, v35
	;; [unrolled: 6-line block ×4, first 2 shown]
	v_xor_b32_e32 v21, v31, v28
	s_waitcnt vmcnt(1)
	v_readfirstlane_b32 s4, v108
	v_xor_b32_e32 v19, s31, v19
	v_xor_b32_e32 v21, s44, v21
	v_lshrrev_b32_e32 v27, 8, v19
	v_lshrrev_b32_e32 v28, 24, v19
	;; [unrolled: 1-line block ×8, first 2 shown]
	s_waitcnt vmcnt(0)
	v_lshl_add_u32 v37, s4, 8, v37
	ds_write_b8 v37, v19
	ds_write_b8 v37, v27 offset:8
	ds_write_b8_d16_hi v37, v19 offset:16
	ds_write_b8 v37, v28 offset:24
	ds_write_b8 v37, v34 offset:32
	ds_write_b8 v37, v29 offset:40
	ds_write_b8_d16_hi v37, v34 offset:48
	ds_write_b8 v37, v31 offset:56
	ds_write_b8 v37, v21 offset:128
	;; [unrolled: 4-line block ×3, first 2 shown]
	ds_write_b8 v37, v35 offset:168
	ds_write_b8_d16_hi v37, v30 offset:176
	ds_write_b8 v37, v36 offset:184
	s_waitcnt lgkmcnt(0)
	s_barrier
	ds_read_b64 v[72:73], v6 offset:27648
	ds_read_b64 v[62:63], v10 offset:27648
	s_waitcnt lgkmcnt(0)
	s_barrier
	s_and_saveexec_b64 s[20:21], vcc
	s_cbranch_execz .LBB1_73
; %bb.68:                               ;   in Loop: Header=BB1_45 Depth=1
	buffer_load_dword v19, off, s[0:3], s32 offset:1080 ; 4-byte Folded Reload
	buffer_load_dword v21, off, s[0:3], s32 offset:1092 ; 4-byte Folded Reload
	v_readfirstlane_b32 s4, v108
	v_accvgpr_read_b32 v27, a92
	s_mov_b64 s[22:23], exec
	s_waitcnt vmcnt(1)
	v_lshl_add_u32 v19, s4, 5, v19
	v_cmp_le_i32_e64 s[4:5], v27, v19
	s_waitcnt vmcnt(0)
	v_mul_lo_u32 v21, v19, v21
	v_cndmask_b32_e64 v19, 0, 1, s[4:5]
	v_lshl_add_u32 v19, v19, 31, v21
	buffer_load_dword v21, off, s[0:3], s32 offset:1132 ; 4-byte Folded Reload
	s_waitcnt vmcnt(0)
	v_add3_u32 v19, v21, s26, v19
.LBB1_69:                               ;   Parent Loop BB1_45 Depth=1
                                        ; =>  This Inner Loop Header: Depth=2
	v_readfirstlane_b32 s8, v118
	v_readfirstlane_b32 s9, v119
	;; [unrolled: 1-line block ×4, first 2 shown]
	v_cmp_eq_u64_e64 s[4:5], s[8:9], v[118:119]
	v_cmp_eq_u64_e64 s[6:7], s[10:11], v[116:117]
	s_and_b64 s[4:5], s[4:5], s[6:7]
	s_and_saveexec_b64 s[4:5], s[4:5]
	s_nop 0
	buffer_store_dwordx2 v[72:73], v19, s[8:11], 0 offen offset:64
	s_xor_b64 exec, exec, s[4:5]
	s_cbranch_execnz .LBB1_69
; %bb.70:                               ;   in Loop: Header=BB1_45 Depth=1
	s_mov_b64 exec, s[22:23]
	s_mov_b64 s[22:23], exec
.LBB1_71:                               ;   Parent Loop BB1_45 Depth=1
                                        ; =>  This Inner Loop Header: Depth=2
	v_readfirstlane_b32 s8, v118
	v_readfirstlane_b32 s9, v119
	;; [unrolled: 1-line block ×4, first 2 shown]
	v_cmp_eq_u64_e64 s[4:5], s[8:9], v[118:119]
	v_cmp_eq_u64_e64 s[6:7], s[10:11], v[116:117]
	s_and_b64 s[4:5], s[4:5], s[6:7]
	s_and_saveexec_b64 s[4:5], s[4:5]
	s_nop 0
	buffer_store_dwordx2 v[62:63], v19, s[8:11], 0 offen offset:80
                                        ; implicit-def: $vgpr19
	s_xor_b64 exec, exec, s[4:5]
	s_cbranch_execnz .LBB1_71
; %bb.72:                               ;   in Loop: Header=BB1_45 Depth=1
	s_mov_b64 exec, s[22:23]
	buffer_load_dword v108, off, s[0:3], s32 offset:1072 ; 4-byte Folded Reload
.LBB1_73:                               ;   in Loop: Header=BB1_45 Depth=1
	s_or_b64 exec, exec, s[20:21]
	buffer_load_dword v32, off, s[0:3], s32 offset:1076 ; 4-byte Folded Reload
	v_or_b32_e32 v7, 3, v7
	v_xor_b32_e32 v7, v7, v11
	v_xor_b32_e32 v7, s15, v7
	v_mad_u64_u32 v[28:29], s[4:5], v7, s48, 0
	v_xor_b32_e32 v7, s50, v29
	v_mad_u64_u32 v[30:31], s[4:5], v7, s47, 0
	v_xor_b32_e32 v7, v8, v28
	v_xor_b32_e32 v8, s37, v31
	v_xor_b32_e32 v8, v8, v18
	v_mad_u64_u32 v[18:19], s[4:5], v7, s47, 0
	v_mad_u64_u32 v[28:29], s[4:5], v8, s48, 0
	v_xor_b32_e32 v8, s39, v19
	v_xor_b32_e32 v7, s38, v29
	v_xor_b32_e32 v8, v8, v30
	v_xor_b32_e32 v7, v7, v20
	v_mad_u64_u32 v[30:31], s[4:5], v8, s48, 0
	v_mad_u64_u32 v[20:21], s[4:5], v7, s47, 0
	v_xor_b32_e32 v7, s40, v31
	;; [unrolled: 6-line block ×4, first 2 shown]
	v_xor_b32_e32 v7, s31, v7
	v_xor_b32_e32 v8, v21, v18
	s_waitcnt vmcnt(1)
	v_readfirstlane_b32 s4, v108
	v_xor_b32_e32 v8, s44, v8
	v_lshrrev_b32_e32 v18, 24, v7
	v_lshrrev_b32_e32 v19, 8, v30
	;; [unrolled: 1-line block ×8, first 2 shown]
	s_waitcnt vmcnt(0)
	v_lshl_add_u32 v32, s4, 8, v32
	ds_write_b8 v32, v7
	ds_write_b8 v32, v11 offset:8
	ds_write_b8_d16_hi v32, v7 offset:16
	ds_write_b8 v32, v18 offset:24
	ds_write_b8 v32, v30 offset:32
	ds_write_b8 v32, v19 offset:40
	ds_write_b8_d16_hi v32, v30 offset:48
	ds_write_b8 v32, v21 offset:56
	ds_write_b8 v32, v8 offset:128
	;; [unrolled: 4-line block ×3, first 2 shown]
	ds_write_b8 v32, v29 offset:168
	ds_write_b8_d16_hi v32, v20 offset:176
	ds_write_b8 v32, v31 offset:184
	s_waitcnt lgkmcnt(0)
	s_barrier
	ds_read_b64 v[18:19], v6 offset:27648
	ds_read_b64 v[20:21], v10 offset:27648
	s_waitcnt lgkmcnt(0)
	s_barrier
	s_and_saveexec_b64 s[20:21], vcc
	s_cbranch_execz .LBB1_79
; %bb.74:                               ;   in Loop: Header=BB1_45 Depth=1
	buffer_load_dword v6, off, s[0:3], s32 offset:1080 ; 4-byte Folded Reload
	buffer_load_dword v7, off, s[0:3], s32 offset:1092 ; 4-byte Folded Reload
	v_readfirstlane_b32 s4, v108
	v_accvgpr_read_b32 v8, a92
	s_mov_b64 s[22:23], exec
	s_waitcnt vmcnt(1)
	v_lshl_add_u32 v6, s4, 5, v6
	v_cmp_le_i32_e64 s[4:5], v8, v6
	s_waitcnt vmcnt(0)
	v_mul_lo_u32 v7, v6, v7
	v_cndmask_b32_e64 v6, 0, 1, s[4:5]
	v_lshl_add_u32 v6, v6, 31, v7
	buffer_load_dword v7, off, s[0:3], s32 offset:1132 ; 4-byte Folded Reload
	s_waitcnt vmcnt(0)
	v_add3_u32 v6, v7, s26, v6
.LBB1_75:                               ;   Parent Loop BB1_45 Depth=1
                                        ; =>  This Inner Loop Header: Depth=2
	v_readfirstlane_b32 s8, v118
	v_readfirstlane_b32 s9, v119
	;; [unrolled: 1-line block ×4, first 2 shown]
	v_cmp_eq_u64_e64 s[4:5], s[8:9], v[118:119]
	v_cmp_eq_u64_e64 s[6:7], s[10:11], v[116:117]
	s_and_b64 s[4:5], s[4:5], s[6:7]
	s_and_saveexec_b64 s[4:5], s[4:5]
	s_nop 0
	buffer_store_dwordx2 v[18:19], v6, s[8:11], 0 offen offset:96
	s_xor_b64 exec, exec, s[4:5]
	s_cbranch_execnz .LBB1_75
; %bb.76:                               ;   in Loop: Header=BB1_45 Depth=1
	s_mov_b64 exec, s[22:23]
	s_mov_b64 s[22:23], exec
.LBB1_77:                               ;   Parent Loop BB1_45 Depth=1
                                        ; =>  This Inner Loop Header: Depth=2
	v_readfirstlane_b32 s8, v118
	v_readfirstlane_b32 s9, v119
	;; [unrolled: 1-line block ×4, first 2 shown]
	v_cmp_eq_u64_e64 s[4:5], s[8:9], v[118:119]
	v_cmp_eq_u64_e64 s[6:7], s[10:11], v[116:117]
	s_and_b64 s[4:5], s[4:5], s[6:7]
	s_and_saveexec_b64 s[4:5], s[4:5]
	s_nop 0
	buffer_store_dwordx2 v[20:21], v6, s[8:11], 0 offen offset:112
                                        ; implicit-def: $vgpr6
	s_xor_b64 exec, exec, s[4:5]
	s_cbranch_execnz .LBB1_77
; %bb.78:                               ;   in Loop: Header=BB1_45 Depth=1
	s_mov_b64 exec, s[22:23]
	buffer_load_dword v108, off, s[0:3], s32 offset:1072 ; 4-byte Folded Reload
.LBB1_79:                               ;   in Loop: Header=BB1_45 Depth=1
	s_or_b64 exec, exec, s[20:21]
	v_accvgpr_read_b32 v6, a65
	v_sub_f32_e32 v6, v6, v26
	v_exp_f32_e32 v10, v6
	buffer_load_dword v6, off, s[0:3], s32 offset:1180 ; 4-byte Folded Reload
	buffer_load_dword v7, off, s[0:3], s32 offset:1184 ; 4-byte Folded Reload
	v_and_b32_sdwa v8, v74, s49 dst_sel:DWORD dst_unused:UNUSED_PAD src0_sel:WORD_1 src1_sel:DWORD
	v_cmp_ge_u16_sdwa s[6:7], v126, v8 src0_sel:BYTE_0 src1_sel:DWORD
	v_mul_f32_e32 v8, v90, v121
	v_cmp_ge_u16_sdwa s[8:9], v126, v74 src0_sel:BYTE_0 src1_sel:BYTE_0
	v_cndmask_b32_e64 v8, 0, v8, s[8:9]
	v_mul_f32_e32 v13, v90, v13
	v_mul_f32_e32 v12, v90, v12
	v_lshrrev_b32_e32 v89, 8, v73
	v_and_b32_sdwa v79, v73, s49 dst_sel:DWORD dst_unused:UNUSED_PAD src0_sel:WORD_1 src1_sel:DWORD
	v_lshrrev_b32_e32 v78, 8, v62
	v_mul_f32_e32 v1, v90, v1
	s_mov_b64 s[20:21], exec
	s_waitcnt vmcnt(0)
	v_pk_mul_f32 v[40:41], v[6:7], v[10:11] op_sel_hi:[1,0]
	buffer_load_dword v6, off, s[0:3], s32 offset:1172 ; 4-byte Folded Reload
	buffer_load_dword v7, off, s[0:3], s32 offset:1176 ; 4-byte Folded Reload
	s_waitcnt vmcnt(0)
	v_pk_mul_f32 v[38:39], v[6:7], v[10:11] op_sel_hi:[1,0]
	v_accvgpr_read_b32 v6, a96
	v_accvgpr_read_b32 v7, a97
	v_pk_mul_f32 v[36:37], v[6:7], v[10:11] op_sel_hi:[1,0]
	v_accvgpr_read_b32 v6, a66
	v_accvgpr_read_b32 v7, a67
	v_pk_mul_f32 v[34:35], v[6:7], v[10:11] op_sel_hi:[1,0]
	v_accvgpr_read_b32 v6, a84
	v_accvgpr_read_b32 v7, a85
	v_pk_mul_f32 v[32:33], v[6:7], v[10:11] op_sel_hi:[1,0]
	v_accvgpr_read_b32 v6, a108
	v_accvgpr_read_b32 v7, a109
	v_pk_mul_f32 v[30:31], v[6:7], v[10:11] op_sel_hi:[1,0]
	v_accvgpr_read_b32 v6, a100
	v_accvgpr_read_b32 v7, a101
	v_pk_mul_f32 v[28:29], v[6:7], v[10:11] op_sel_hi:[1,0]
	buffer_load_dword v6, off, s[0:3], s32 offset:1164 ; 4-byte Folded Reload
	buffer_load_dword v7, off, s[0:3], s32 offset:1168 ; 4-byte Folded Reload
	s_waitcnt lgkmcnt(0)
	s_barrier
	buffer_load_dword v48, off, s[0:3], s32 offset:1112 ; 4-byte Folded Reload
	s_waitcnt vmcnt(1)
	v_pk_mul_f32 v[26:27], v[6:7], v[10:11] op_sel_hi:[1,0]
	v_accvgpr_write_b32 a0, v26
	v_accvgpr_write_b32 a1, v27
	;; [unrolled: 1-line block ×16, first 2 shown]
	s_waitcnt vmcnt(0)
	ds_read_b128 v[26:29], v48
	ds_read_b128 v[52:55], v48 offset:576
	v_lshrrev_b32_e32 v7, 8, v74
	v_mul_f32_e32 v6, v90, v124
	v_cmp_ge_u16_sdwa s[4:5], v126, v7 src0_sel:BYTE_0 src1_sel:BYTE_0
	v_mul_f32_e32 v7, v90, v123
	v_cndmask_b32_e64 v6, 0, v6, s[4:5]
	v_mul_f32_e32 v11, v90, v122
	v_cmp_ge_u16_sdwa s[4:5], v126, v74 src0_sel:BYTE_0 src1_sel:BYTE_3
	v_cndmask_b32_e64 v7, 0, v7, s[6:7]
	v_cndmask_b32_e64 v11, 0, v11, s[4:5]
	v_cvt_pkrtz_f16_f32 v6, v8, v6
	v_cvt_pkrtz_f16_f32 v7, v7, v11
	v_mul_f32_e32 v8, v90, v109
	v_mul_f32_e32 v11, v90, v120
	s_waitcnt lgkmcnt(1)
	v_mfma_f32_32x32x8f16 a[0:15], v[26:27], v[6:7], a[0:15]
	v_and_b32_sdwa v26, v75, s49 dst_sel:DWORD dst_unused:UNUSED_PAD src0_sel:WORD_1 src1_sel:DWORD
	v_lshrrev_b32_e32 v27, 8, v75
	v_cmp_ge_u16_sdwa s[4:5], v126, v75 src0_sel:BYTE_0 src1_sel:BYTE_3
	v_cmp_ge_u16_sdwa s[6:7], v126, v75 src0_sel:BYTE_0 src1_sel:BYTE_0
	v_cmp_ge_u16_sdwa s[8:9], v126, v27 src0_sel:BYTE_0 src1_sel:BYTE_0
	v_cmp_ge_u16_sdwa s[10:11], v126, v26 src0_sel:BYTE_0 src1_sel:DWORD
	v_cndmask_b32_e64 v8, 0, v8, s[6:7]
	v_cndmask_b32_e64 v13, 0, v13, s[8:9]
	;; [unrolled: 1-line block ×4, first 2 shown]
	v_cvt_pkrtz_f16_f32 v12, v8, v13
	v_cvt_pkrtz_f16_f32 v13, v26, v11
	v_accvgpr_read_b32 v26, a106
	v_accvgpr_read_b32 v27, a107
	v_pk_mul_f32 v[40:41], v[26:27], v[10:11] op_sel_hi:[1,0]
	v_accvgpr_read_b32 v26, a88
	v_accvgpr_read_b32 v27, a89
	v_pk_mul_f32 v[38:39], v[26:27], v[10:11] op_sel_hi:[1,0]
	;; [unrolled: 3-line block ×6, first 2 shown]
	v_accvgpr_read_b32 v26, a78
	v_accvgpr_read_b32 v27, a79
	v_mfma_f32_32x32x8f16 a[0:15], v[28:29], v[12:13], a[0:15]
	v_pk_mul_f32 v[28:29], v[26:27], v[10:11] op_sel_hi:[1,0]
	buffer_load_dword v26, off, s[0:3], s32 offset:1156 ; 4-byte Folded Reload
	buffer_load_dword v27, off, s[0:3], s32 offset:1160 ; 4-byte Folded Reload
	v_cmp_ge_u16_sdwa s[4:5], v126, v72 src0_sel:BYTE_0 src1_sel:BYTE_0
	v_and_b32_sdwa v75, v62, s49 dst_sel:DWORD dst_unused:UNUSED_PAD src0_sel:WORD_1 src1_sel:DWORD
	v_lshrrev_b32_e32 v74, 8, v63
	v_and_b32_sdwa v8, v63, s49 dst_sel:DWORD dst_unused:UNUSED_PAD src0_sel:WORD_1 src1_sel:DWORD
	s_waitcnt vmcnt(0)
	v_pk_mul_f32 v[26:27], v[26:27], v[10:11] op_sel_hi:[1,0]
	v_accvgpr_write_b32 a16, v26
	v_accvgpr_write_b32 a17, v27
	;; [unrolled: 1-line block ×16, first 2 shown]
	v_accvgpr_read_b32 v26, a82
	v_accvgpr_read_b32 v27, a83
	v_pk_mul_f32 v[40:41], v[26:27], v[10:11] op_sel_hi:[1,0]
	v_accvgpr_read_b32 v26, a124
	v_accvgpr_read_b32 v27, a125
	v_pk_mul_f32 v[38:39], v[26:27], v[10:11] op_sel_hi:[1,0]
	buffer_load_dword v26, off, s[0:3], s32 offset:1316 ; 4-byte Folded Reload
	buffer_load_dword v27, off, s[0:3], s32 offset:1320 ; 4-byte Folded Reload
	s_waitcnt lgkmcnt(0)
	v_mfma_f32_32x32x8f16 a[16:31], v[52:53], v[6:7], a[16:31]
	s_waitcnt vmcnt(0)
	v_pk_mul_f32 v[36:37], v[26:27], v[10:11] op_sel_hi:[1,0]
	v_mfma_f32_32x32x8f16 a[16:31], v[54:55], v[12:13], a[16:31]
	ds_read_b128 v[52:55], v48 offset:1152
	buffer_load_dword v26, off, s[0:3], s32 offset:1308 ; 4-byte Folded Reload
	buffer_load_dword v27, off, s[0:3], s32 offset:1312 ; 4-byte Folded Reload
	s_waitcnt vmcnt(0)
	v_pk_mul_f32 v[34:35], v[26:27], v[10:11] op_sel_hi:[1,0]
	buffer_load_dword v26, off, s[0:3], s32 offset:1300 ; 4-byte Folded Reload
	buffer_load_dword v27, off, s[0:3], s32 offset:1304 ; 4-byte Folded Reload
	s_waitcnt vmcnt(0)
	v_pk_mul_f32 v[32:33], v[26:27], v[10:11] op_sel_hi:[1,0]
	;; [unrolled: 4-line block ×5, first 2 shown]
	buffer_load_dword v11, off, s[0:3], s32 offset:1120 ; 4-byte Folded Reload
	v_accvgpr_write_b32 a47, v41
	v_accvgpr_write_b32 a46, v40
	v_accvgpr_write_b32 a45, v39
	v_accvgpr_write_b32 a44, v38
	v_accvgpr_write_b32 a43, v37
	v_accvgpr_write_b32 a42, v36
	v_accvgpr_write_b32 a41, v35
	v_accvgpr_write_b32 a40, v34
	v_accvgpr_write_b32 a39, v33
	v_accvgpr_write_b32 a38, v32
	v_accvgpr_write_b32 a37, v31
	v_accvgpr_write_b32 a36, v30
	v_accvgpr_write_b32 a35, v29
	v_accvgpr_write_b32 a34, v28
	v_accvgpr_write_b32 a33, v27
	v_accvgpr_write_b32 a32, v26
	v_lshrrev_b32_e32 v27, 8, v72
	v_and_b32_sdwa v26, v72, s49 dst_sel:DWORD dst_unused:UNUSED_PAD src0_sel:WORD_1 src1_sel:DWORD
	s_waitcnt lgkmcnt(0)
	v_mfma_f32_32x32x8f16 a[32:47], v[52:53], v[6:7], a[32:47]
	v_mul_f32_e32 v28, v90, v77
	s_waitcnt vmcnt(0)
	ds_read_b128 v[104:107], v11
	v_mul_f32_e32 v11, v90, v43
	v_cndmask_b32_e64 v11, 0, v11, s[4:5]
	v_cmp_ge_u16_sdwa s[4:5], v126, v27 src0_sel:BYTE_0 src1_sel:BYTE_0
	v_cndmask_b32_e64 v48, 0, v28, s[4:5]
	v_mul_f32_e32 v27, v90, v88
	v_cmp_ge_u16_sdwa s[4:5], v126, v26 src0_sel:BYTE_0 src1_sel:DWORD
	v_cndmask_b32_e64 v52, 0, v27, s[4:5]
	v_mul_f32_e32 v26, v90, v76
	v_cmp_ge_u16_sdwa s[4:5], v126, v72 src0_sel:BYTE_0 src1_sel:BYTE_3
	v_cndmask_b32_e64 v53, 0, v26, s[4:5]
	v_mul_f32_e32 v26, v90, v42
	v_cmp_ge_u16_sdwa s[4:5], v126, v73 src0_sel:BYTE_0 src1_sel:BYTE_0
	v_cndmask_b32_e64 v49, 0, v26, s[4:5]
	v_mul_f32_e32 v26, v90, v111
	v_cmp_ge_u16_sdwa s[4:5], v126, v89 src0_sel:BYTE_0 src1_sel:BYTE_0
	v_mfma_f32_32x32x8f16 a[32:47], v[54:55], v[12:13], a[32:47]
	v_cndmask_b32_e64 v54, 0, v26, s[4:5]
	buffer_load_dword v26, off, s[0:3], s32 offset:1264 ; 4-byte Folded Reload
	buffer_load_dword v27, off, s[0:3], s32 offset:1268 ; 4-byte Folded Reload
	v_mul_f32_e32 v55, v90, v110
	v_cmp_ge_u16_sdwa s[4:5], v126, v79 src0_sel:BYTE_0 src1_sel:DWORD
	s_waitcnt vmcnt(0)
	v_pk_mul_f32 v[40:41], v[26:27], v[10:11] op_sel_hi:[1,0]
	buffer_load_dword v26, off, s[0:3], s32 offset:1256 ; 4-byte Folded Reload
	buffer_load_dword v27, off, s[0:3], s32 offset:1260 ; 4-byte Folded Reload
	s_waitcnt vmcnt(0)
	v_pk_mul_f32 v[38:39], v[26:27], v[10:11] op_sel_hi:[1,0]
	buffer_load_dword v26, off, s[0:3], s32 offset:1244 ; 4-byte Folded Reload
	buffer_load_dword v27, off, s[0:3], s32 offset:1248 ; 4-byte Folded Reload
	;; [unrolled: 4-line block ×7, first 2 shown]
	s_waitcnt vmcnt(0)
	v_pk_mul_f32 v[26:27], v[26:27], v[10:11] op_sel_hi:[1,0]
	v_accvgpr_write_b32 a63, v41
	v_accvgpr_write_b32 a62, v40
	;; [unrolled: 1-line block ×16, first 2 shown]
	v_cndmask_b32_e64 v38, 0, v55, s[4:5]
	v_cmp_ge_u16_sdwa s[4:5], v126, v73 src0_sel:BYTE_0 src1_sel:BYTE_3
	s_waitcnt lgkmcnt(0)
	v_mfma_f32_32x32x8f16 a[48:63], v[104:105], v[6:7], a[48:63]
	v_mul_f32_e32 v6, v90, v25
	v_cndmask_b32_e64 v39, 0, v6, s[4:5]
	v_mul_f32_e32 v6, v90, v24
	v_cmp_ge_u16_sdwa s[4:5], v126, v62 src0_sel:BYTE_0 src1_sel:BYTE_0
	v_cndmask_b32_e64 v55, 0, v6, s[4:5]
	v_cmp_ge_u16_sdwa s[4:5], v126, v78 src0_sel:BYTE_0 src1_sel:BYTE_0
	v_accvgpr_read_b32 v24, a127
	v_cndmask_b32_e64 v40, 0, v1, s[4:5]
	v_mul_f32_e32 v24, v90, v24
	v_cmp_ge_u16_sdwa s[4:5], v126, v56 src0_sel:BYTE_0 src1_sel:BYTE_0
	buffer_load_dword v34, off, s[0:3], s32 offset:1116 ; 4-byte Folded Reload
	v_lshrrev_b32_e32 v1, 8, v56
	v_mul_f32_e32 v6, v90, v0
	v_and_b32_sdwa v0, v56, s49 dst_sel:DWORD dst_unused:UNUSED_PAD src0_sel:WORD_1 src1_sel:DWORD
	v_and_b32_sdwa v7, v57, s49 dst_sel:DWORD dst_unused:UNUSED_PAD src0_sel:WORD_1 src1_sel:DWORD
	v_mfma_f32_32x32x8f16 a[48:63], v[106:107], v[12:13], a[48:63]
	v_cndmask_b32_e64 v12, 0, v24, s[4:5]
	buffer_load_dword v24, off, s[0:3], s32 offset:1108 ; 4-byte Folded Reload
	v_mul_f32_e32 v13, v90, v80
	v_cmp_ge_u16_sdwa s[4:5], v126, v1 src0_sel:BYTE_0 src1_sel:BYTE_0
	v_cndmask_b32_e64 v1, 0, v13, s[4:5]
	v_mul_f32_e32 v13, v90, v70
	v_cmp_ge_u16_sdwa s[4:5], v126, v0 src0_sel:BYTE_0 src1_sel:DWORD
	v_cndmask_b32_e64 v13, 0, v13, s[4:5]
	v_mul_f32_e32 v0, v90, v69
	v_cmp_ge_u16_sdwa s[4:5], v126, v56 src0_sel:BYTE_0 src1_sel:BYTE_3
	v_lshrrev_b32_e32 v25, 8, v58
	s_waitcnt vmcnt(1)
	ds_read_b128 v[30:33], v34 offset:576
	s_waitcnt vmcnt(0)
	ds_read_b128 v[26:29], v24
	v_cndmask_b32_e64 v24, 0, v0, s[4:5]
	v_cvt_pkrtz_f16_f32 v0, v12, v1
	v_cvt_pkrtz_f16_f32 v1, v13, v24
	v_accvgpr_read_b32 v13, a122
	v_lshrrev_b32_e32 v12, 8, v57
	s_waitcnt lgkmcnt(0)
	v_mfma_f32_32x32x8f16 a[0:15], v[26:27], v[0:1], a[0:15]
	v_mul_f32_e32 v13, v90, v13
	v_cmp_ge_u16_sdwa s[4:5], v126, v57 src0_sel:BYTE_0 src1_sel:BYTE_0
	v_cndmask_b32_e64 v13, 0, v13, s[4:5]
	v_mul_f32_e32 v24, v90, v67
	v_cmp_ge_u16_sdwa s[4:5], v126, v12 src0_sel:BYTE_0 src1_sel:BYTE_0
	v_cndmask_b32_e64 v12, 0, v24, s[4:5]
	v_mul_f32_e32 v24, v90, v66
	v_cmp_ge_u16_sdwa s[4:5], v126, v7 src0_sel:BYTE_0 src1_sel:DWORD
	v_cndmask_b32_e64 v7, 0, v24, s[4:5]
	v_mul_f32_e32 v24, v90, v65
	v_cmp_ge_u16_sdwa s[4:5], v126, v57 src0_sel:BYTE_0 src1_sel:BYTE_3
	v_cndmask_b32_e64 v24, 0, v24, s[4:5]
	v_cvt_pkrtz_f16_f32 v26, v13, v12
	v_cvt_pkrtz_f16_f32 v27, v7, v24
	v_cmp_ge_u16_sdwa s[4:5], v126, v75 src0_sel:BYTE_0 src1_sel:DWORD
	v_mfma_f32_32x32x8f16 a[16:31], v[30:31], v[0:1], a[16:31]
	v_lshrrev_b32_e32 v7, 8, v60
	v_lshrrev_b32_e32 v31, 8, v61
	v_and_b32_sdwa v30, v61, s49 dst_sel:DWORD dst_unused:UNUSED_PAD src0_sel:WORD_1 src1_sel:DWORD
	v_and_b32_sdwa v24, v58, s49 dst_sel:DWORD dst_unused:UNUSED_PAD src0_sel:WORD_1 src1_sel:DWORD
	v_lshrrev_b32_e32 v13, 8, v59
	v_and_b32_sdwa v12, v59, s49 dst_sel:DWORD dst_unused:UNUSED_PAD src0_sel:WORD_1 src1_sel:DWORD
	v_mfma_f32_32x32x8f16 a[0:15], v[28:29], v[26:27], a[0:15]
	v_cndmask_b32_e64 v28, 0, v6, s[4:5]
	v_mul_f32_e32 v6, v90, v9
	v_cmp_ge_u16_sdwa s[4:5], v126, v62 src0_sel:BYTE_0 src1_sel:BYTE_3
	v_cndmask_b32_e64 v29, 0, v6, s[4:5]
	v_mul_f32_e32 v6, v90, v50
	v_cmp_ge_u16_sdwa s[4:5], v126, v63 src0_sel:BYTE_0 src1_sel:BYTE_0
	v_cndmask_b32_e64 v51, 0, v6, s[4:5]
	v_mul_f32_e32 v6, v90, v83
	v_cmp_ge_u16_sdwa s[4:5], v126, v74 src0_sel:BYTE_0 src1_sel:BYTE_0
	v_cndmask_b32_e64 v41, 0, v6, s[4:5]
	v_mul_f32_e32 v6, v90, v82
	v_cmp_ge_u16_sdwa s[4:5], v126, v8 src0_sel:BYTE_0 src1_sel:DWORD
	v_cndmask_b32_e64 v50, 0, v6, s[4:5]
	v_mul_f32_e32 v6, v90, v81
	v_cmp_ge_u16_sdwa s[4:5], v126, v63 src0_sel:BYTE_0 src1_sel:BYTE_3
	v_accvgpr_read_b32 v8, a123
	v_cndmask_b32_e64 v42, 0, v6, s[4:5]
	v_mul_f32_e32 v8, v90, v8
	v_cmp_ge_u16_sdwa s[4:5], v126, v60 src0_sel:BYTE_0 src1_sel:BYTE_0
	v_cndmask_b32_e64 v43, 0, v8, s[4:5]
	v_accvgpr_read_b32 v8, a118
	v_and_b32_sdwa v6, v60, s49 dst_sel:DWORD dst_unused:UNUSED_PAD src0_sel:WORD_1 src1_sel:DWORD
	v_mul_f32_e32 v8, v90, v8
	v_cmp_ge_u16_sdwa s[4:5], v126, v7 src0_sel:BYTE_0 src1_sel:BYTE_0
	v_accvgpr_read_b32 v7, a119
	v_cndmask_b32_e64 v46, 0, v8, s[4:5]
	v_mul_f32_e32 v7, v90, v7
	v_cmp_ge_u16_sdwa s[4:5], v126, v6 src0_sel:BYTE_0 src1_sel:DWORD
	v_mfma_f32_32x32x8f16 a[16:31], v[32:33], v[26:27], a[16:31]
	v_cndmask_b32_e64 v33, 0, v7, s[4:5]
	v_cmp_ge_u16_sdwa s[4:5], v126, v60 src0_sel:BYTE_0 src1_sel:BYTE_3
	buffer_load_dword v60, off, s[0:3], s32 offset:1452 ; 4-byte Folded Reload
	v_accvgpr_read_b32 v6, a120
	v_mul_f32_e32 v6, v90, v6
	v_cndmask_b32_e64 v47, 0, v6, s[4:5]
	ds_read_b128 v[6:9], v34 offset:1152
	v_accvgpr_read_b32 v32, a121
	v_mul_f32_e32 v32, v90, v32
	v_cmp_ge_u16_sdwa s[4:5], v126, v61 src0_sel:BYTE_0 src1_sel:BYTE_0
	v_cndmask_b32_e64 v56, 0, v32, s[4:5]
	v_accvgpr_read_b32 v32, a116
	v_mul_f32_e32 v32, v90, v32
	v_cmp_ge_u16_sdwa s[4:5], v126, v31 src0_sel:BYTE_0 src1_sel:BYTE_0
	v_cndmask_b32_e64 v31, 0, v32, s[4:5]
	s_waitcnt lgkmcnt(0)
	v_mfma_f32_32x32x8f16 a[32:47], v[6:7], v[0:1], a[32:47]
	v_accvgpr_read_b32 v32, a117
	v_mul_f32_e32 v32, v90, v32
	v_cmp_ge_u16_sdwa s[4:5], v126, v30 src0_sel:BYTE_0 src1_sel:DWORD
	v_accvgpr_read_b32 v7, a112
	v_cndmask_b32_e64 v6, 0, v32, s[4:5]
	v_mul_f32_e32 v7, v90, v7
	v_cmp_ge_u16_sdwa s[4:5], v126, v61 src0_sel:BYTE_0 src1_sel:BYTE_3
	v_accvgpr_read_b32 v30, a113
	v_cndmask_b32_e64 v7, 0, v7, s[4:5]
	v_mul_f32_e32 v30, v90, v30
	v_cmp_ge_u16_sdwa s[4:5], v126, v58 src0_sel:BYTE_0 src1_sel:BYTE_0
	v_accvgpr_read_b32 v32, a114
	v_cndmask_b32_e64 v30, 0, v30, s[4:5]
	v_mul_f32_e32 v32, v90, v32
	v_cmp_ge_u16_sdwa s[4:5], v126, v25 src0_sel:BYTE_0 src1_sel:BYTE_0
	v_cndmask_b32_e64 v25, 0, v32, s[4:5]
	v_accvgpr_read_b32 v32, a115
	v_mul_f32_e32 v32, v90, v32
	v_cmp_ge_u16_sdwa s[4:5], v126, v24 src0_sel:BYTE_0 src1_sel:DWORD
	v_cndmask_b32_e64 v24, 0, v32, s[4:5]
	v_accvgpr_read_b32 v32, a110
	v_mul_f32_e32 v32, v90, v32
	v_cmp_ge_u16_sdwa s[4:5], v126, v58 src0_sel:BYTE_0 src1_sel:BYTE_3
	v_mfma_f32_32x32x8f16 a[32:47], v[8:9], v[26:27], a[32:47]
	v_cndmask_b32_e64 v8, 0, v32, s[4:5]
	v_accvgpr_read_b32 v9, a94
	v_mul_f32_e32 v9, v90, v9
	v_cmp_ge_u16_sdwa s[4:5], v126, v59 src0_sel:BYTE_0 src1_sel:BYTE_0
	v_accvgpr_read_b32 v32, a95
	v_cndmask_b32_e64 v9, 0, v9, s[4:5]
	v_mul_f32_e32 v32, v90, v32
	v_cmp_ge_u16_sdwa s[4:5], v126, v13 src0_sel:BYTE_0 src1_sel:BYTE_0
	v_cndmask_b32_e64 v13, 0, v32, s[4:5]
	v_accvgpr_read_b32 v32, a98
	v_mul_f32_e32 v32, v90, v32
	v_cmp_ge_u16_sdwa s[4:5], v126, v12 src0_sel:BYTE_0 src1_sel:DWORD
	v_cndmask_b32_e64 v12, 0, v32, s[4:5]
	v_accvgpr_read_b32 v32, a99
	v_mul_f32_e32 v32, v90, v32
	v_cmp_ge_u16_sdwa s[4:5], v126, v59 src0_sel:BYTE_0 src1_sel:BYTE_3
	v_cndmask_b32_e64 v57, 0, v32, s[4:5]
	v_readfirstlane_b32 s4, v108
	v_cvt_pkrtz_f16_f32 v32, v43, v46
	v_cvt_pkrtz_f16_f32 v33, v33, v47
	;; [unrolled: 1-line block ×5, first 2 shown]
	s_waitcnt vmcnt(0)
	ds_read_b128 v[34:37], v60
	s_waitcnt lgkmcnt(0)
	v_mfma_f32_32x32x8f16 a[48:63], v[34:35], v[0:1], a[48:63]
	v_cvt_pkrtz_f16_f32 v34, v56, v31
	v_cvt_pkrtz_f16_f32 v31, v24, v8
	;; [unrolled: 1-line block ×3, first 2 shown]
	buffer_load_dword v11, off, s[0:3], s32 offset:1096 ; 4-byte Folded Reload
	v_cvt_pkrtz_f16_f32 v35, v6, v7
	v_cvt_pkrtz_f16_f32 v7, v28, v29
	v_perm_b32 v28, v16, v114, s45
	v_perm_b32 v16, v16, v114, s46
	v_perm_b32 v29, v17, v115, s45
	v_perm_b32 v17, v17, v115, s46
	v_cvt_pkrtz_f16_f32 v24, v9, v13
	v_cvt_pkrtz_f16_f32 v9, v52, v53
	;; [unrolled: 1-line block ×5, first 2 shown]
	v_mfma_f32_32x32x8f16 a[48:63], v[36:37], v[26:27], a[48:63]
	buffer_load_dword v37, off, s[0:3], s32 offset:1428 ; 4-byte Folded Reload
	buffer_load_dword v36, off, s[0:3], s32 offset:1432 ; 4-byte Folded Reload
	v_perm_b32 v26, v14, v112, s45
	v_perm_b32 v14, v14, v112, s46
	;; [unrolled: 1-line block ×4, first 2 shown]
	v_cvt_pkrtz_f16_f32 v1, v50, v42
	s_waitcnt vmcnt(2)
	v_add_u32_e32 v11, s4, v11
	v_mul_lo_u32 v11, v11, s30
	s_waitcnt vmcnt(0)
	v_add_u32_e32 v36, v11, v36
	v_add_lshl_u32 v36, v36, v37, 1
	v_add_u32_e32 v37, 0x2400, v36
	ds_write2_b32 v37, v26, v14 offset1:4
	ds_write2_b32 v37, v27, v15 offset0:8 offset1:12
	ds_write2_b32 v37, v28, v16 offset0:16 offset1:20
	;; [unrolled: 1-line block ×3, first 2 shown]
	v_accvgpr_read_b32 v14, a68
	v_accvgpr_read_b32 v15, a93
	v_add_u32_e32 v26, v14, v15
.LBB1_80:                               ;   Parent Loop BB1_45 Depth=1
                                        ; =>  This Inner Loop Header: Depth=2
	v_readfirstlane_b32 s8, v22
	v_readfirstlane_b32 s9, v23
	;; [unrolled: 1-line block ×4, first 2 shown]
	v_cmp_eq_u64_e64 s[4:5], s[8:9], v[22:23]
	v_cmp_eq_u64_e64 s[6:7], s[10:11], v[44:45]
	s_and_b64 s[4:5], s[4:5], s[6:7]
	s_and_saveexec_b64 s[4:5], s[4:5]
	s_nop 0
	buffer_load_dwordx4 v[14:17], v26, s[8:11], 0 offen
                                        ; implicit-def: $vgpr26
	s_xor_b64 exec, exec, s[4:5]
	s_cbranch_execnz .LBB1_80
; %bb.81:                               ;   in Loop: Header=BB1_45 Depth=1
	s_mov_b64 exec, s[20:21]
	v_accvgpr_read_b32 v26, a68
	v_accvgpr_read_b32 v27, a64
	v_add_u32_e32 v37, v26, v27
	s_mov_b64 s[20:21], exec
.LBB1_82:                               ;   Parent Loop BB1_45 Depth=1
                                        ; =>  This Inner Loop Header: Depth=2
	v_readfirstlane_b32 s8, v22
	v_readfirstlane_b32 s9, v23
	v_readfirstlane_b32 s10, v44
	v_readfirstlane_b32 s11, v45
	v_cmp_eq_u64_e64 s[4:5], s[8:9], v[22:23]
	v_cmp_eq_u64_e64 s[6:7], s[10:11], v[44:45]
	s_and_b64 s[4:5], s[4:5], s[6:7]
	s_and_saveexec_b64 s[4:5], s[4:5]
	s_nop 0
	buffer_load_dwordx4 v[26:29], v37, s[8:11], 0 offen
                                        ; implicit-def: $vgpr37
	s_xor_b64 exec, exec, s[4:5]
	s_cbranch_execnz .LBB1_82
; %bb.83:                               ;   in Loop: Header=BB1_45 Depth=1
	s_mov_b64 exec, s[20:21]
	s_waitcnt lgkmcnt(0)
	s_barrier
	buffer_load_dword v37, off, s[0:3], s32 offset:1456 ; 4-byte Folded Reload
	s_mov_b64 s[20:21], exec
	s_waitcnt vmcnt(0)
	ds_read_b128 v[48:51], v37
	ds_read_b128 v[52:55], v60 offset:9216
	s_waitcnt lgkmcnt(1)
	v_mfma_f32_32x32x8f16 a[0:15], v[48:49], v[32:33], a[0:15]
	v_mfma_f32_32x32x8f16 a[0:15], v[50:51], v[34:35], a[0:15]
	ds_read_b128 v[48:51], v37 offset:576
	ds_read_b128 v[112:115], v37 offset:1152
	buffer_load_dword v37, off, s[0:3], s32 offset:1124 ; 4-byte Folded Reload
	s_waitcnt lgkmcnt(1)
	v_mfma_f32_32x32x8f16 a[16:31], v[48:49], v[32:33], a[16:31]
	v_mfma_f32_32x32x8f16 a[16:31], v[50:51], v[34:35], a[16:31]
	s_waitcnt vmcnt(0)
	ds_read_b128 v[48:51], v37 offset:9216
	buffer_load_dword v37, off, s[0:3], s32 offset:1128 ; 4-byte Folded Reload
	s_waitcnt lgkmcnt(1)
	v_mfma_f32_32x32x8f16 a[32:47], v[112:113], v[32:33], a[32:47]
	v_mfma_f32_32x32x8f16 a[32:47], v[114:115], v[34:35], a[32:47]
	s_waitcnt vmcnt(0)
	;; [unrolled: 6-line block ×3, first 2 shown]
	ds_read_b128 v[32:35], v37 offset:576
	ds_read_b128 v[48:51], v37 offset:1152
	s_waitcnt lgkmcnt(2)
	v_mfma_f32_32x32x8f16 a[0:15], v[112:113], v[30:31], a[0:15]
	s_waitcnt lgkmcnt(1)
	v_mfma_f32_32x32x8f16 a[16:31], v[32:33], v[30:31], a[16:31]
	;; [unrolled: 2-line block ×3, first 2 shown]
	v_mfma_f32_32x32x8f16 a[48:63], v[52:53], v[30:31], a[48:63]
	v_perm_b32 v30, v14, v26, s45
	v_perm_b32 v14, v14, v26, s46
	;; [unrolled: 1-line block ×8, first 2 shown]
	v_add_u32_e32 v29, 0x4800, v36
	ds_write2_b32 v29, v30, v14 offset1:4
	ds_write2_b32 v29, v26, v15 offset0:8 offset1:12
	ds_write2_b32 v29, v27, v16 offset0:16 offset1:20
	;; [unrolled: 1-line block ×3, first 2 shown]
	v_accvgpr_read_b32 v14, a68
	v_accvgpr_read_b32 v15, a69
	v_add_u32_e32 v26, v14, v15
	v_mfma_f32_32x32x8f16 a[0:15], v[114:115], v[24:25], a[0:15]
	v_mfma_f32_32x32x8f16 a[16:31], v[34:35], v[24:25], a[16:31]
	;; [unrolled: 1-line block ×4, first 2 shown]
.LBB1_84:                               ;   Parent Loop BB1_45 Depth=1
                                        ; =>  This Inner Loop Header: Depth=2
	v_readfirstlane_b32 s8, v22
	v_readfirstlane_b32 s9, v23
	;; [unrolled: 1-line block ×4, first 2 shown]
	v_cmp_eq_u64_e64 s[4:5], s[8:9], v[22:23]
	v_cmp_eq_u64_e64 s[6:7], s[10:11], v[44:45]
	s_and_b64 s[4:5], s[4:5], s[6:7]
	s_and_saveexec_b64 s[4:5], s[4:5]
	s_nop 0
	buffer_load_dwordx4 v[14:17], v26, s[8:11], 0 offen
                                        ; implicit-def: $vgpr26
	s_xor_b64 exec, exec, s[4:5]
	s_cbranch_execnz .LBB1_84
; %bb.85:                               ;   in Loop: Header=BB1_45 Depth=1
	s_mov_b64 exec, s[20:21]
	v_accvgpr_read_b32 v24, a68
	v_accvgpr_read_b32 v25, a70
	v_add_u32_e32 v24, v24, v25
	s_mov_b64 s[20:21], exec
.LBB1_86:                               ;   Parent Loop BB1_45 Depth=1
                                        ; =>  This Inner Loop Header: Depth=2
	v_readfirstlane_b32 s8, v22
	v_readfirstlane_b32 s9, v23
	;; [unrolled: 1-line block ×4, first 2 shown]
	v_cmp_eq_u64_e64 s[4:5], s[8:9], v[22:23]
	v_cmp_eq_u64_e64 s[6:7], s[10:11], v[44:45]
	s_and_b64 s[4:5], s[4:5], s[6:7]
	s_and_saveexec_b64 s[4:5], s[4:5]
	s_nop 0
	buffer_load_dwordx4 v[26:29], v24, s[8:11], 0 offen
                                        ; implicit-def: $vgpr24
	s_xor_b64 exec, exec, s[4:5]
	s_cbranch_execnz .LBB1_86
; %bb.87:                               ;   in Loop: Header=BB1_45 Depth=1
	s_mov_b64 exec, s[20:21]
	s_waitcnt lgkmcnt(0)
	s_barrier
	buffer_load_dword v25, off, s[0:3], s32 offset:1464 ; 4-byte Folded Reload
	buffer_load_dword v24, off, s[0:3], s32 offset:1128 ; 4-byte Folded Reload
	s_waitcnt vmcnt(1)
	ds_read_b128 v[30:33], v25
	s_waitcnt vmcnt(0)
	ds_read_b128 v[34:37], v24 offset:18432
	s_waitcnt lgkmcnt(1)
	v_mfma_f32_32x32x8f16 a[0:15], v[30:31], v[8:9], a[0:15]
	v_mfma_f32_32x32x8f16 a[0:15], v[32:33], v[12:13], a[0:15]
	ds_read_b128 v[30:33], v25 offset:576
	ds_read_b128 v[48:51], v25 offset:1152
	buffer_load_dword v24, off, s[0:3], s32 offset:1124 ; 4-byte Folded Reload
	s_waitcnt lgkmcnt(1)
	v_mfma_f32_32x32x8f16 a[16:31], v[30:31], v[8:9], a[16:31]
	s_waitcnt lgkmcnt(0)
	v_mfma_f32_32x32x8f16 a[32:47], v[48:49], v[8:9], a[32:47]
	v_mfma_f32_32x32x8f16 a[16:31], v[32:33], v[12:13], a[16:31]
	;; [unrolled: 1-line block ×3, first 2 shown]
	s_waitcnt vmcnt(0)
	ds_read_b128 v[30:33], v24 offset:18432
	ds_read_b128 v[48:51], v60 offset:18432
	s_waitcnt lgkmcnt(1)
	v_mfma_f32_32x32x8f16 a[48:63], v[30:31], v[8:9], a[48:63]
	buffer_load_dword v8, off, s[0:3], s32 offset:1468 ; 4-byte Folded Reload
	v_perm_b32 v9, v15, v27, s46
	v_mfma_f32_32x32x8f16 a[0:15], v[34:35], v[6:7], a[0:15]
	v_mfma_f32_32x32x8f16 a[48:63], v[32:33], v[12:13], a[48:63]
	v_perm_b32 v12, v16, v28, s45
	v_perm_b32 v13, v16, v28, s46
	v_mfma_f32_32x32x8f16 a[0:15], v[36:37], v[0:1], a[0:15]
	s_waitcnt vmcnt(0)
	ds_read_b128 v[30:33], v8 offset:576
	ds_read_b128 v[34:37], v8 offset:1152
	buffer_load_dword v16, off, s[0:3], s32 offset:1104 ; 4-byte Folded Reload
	s_waitcnt lgkmcnt(1)
	v_mfma_f32_32x32x8f16 a[16:31], v[30:31], v[6:7], a[16:31]
	v_perm_b32 v8, v15, v27, s45
	v_perm_b32 v15, v17, v29, s46
	s_waitcnt vmcnt(0)
	v_add_lshl_u32 v11, v11, v16, 1
	s_waitcnt lgkmcnt(0)
	v_mfma_f32_32x32x8f16 a[32:47], v[34:35], v[6:7], a[32:47]
	v_mfma_f32_32x32x8f16 a[48:63], v[48:49], v[6:7], a[48:63]
	v_perm_b32 v6, v14, v26, s45
	v_perm_b32 v7, v14, v26, s46
	v_perm_b32 v14, v17, v29, s45
	ds_write2_b32 v11, v6, v7 offset1:4
	ds_write2_b32 v11, v8, v9 offset0:8 offset1:12
	ds_write2_b32 v11, v12, v13 offset0:16 offset1:20
	;; [unrolled: 1-line block ×3, first 2 shown]
	buffer_load_dword v6, off, s[0:3], s32 offset:1472 ; 4-byte Folded Reload
	s_waitcnt vmcnt(0)
	v_cmp_lt_i32_e64 s[4:5], s25, v6
	v_mfma_f32_32x32x8f16 a[16:31], v[32:33], v[0:1], a[16:31]
	v_mfma_f32_32x32x8f16 a[32:47], v[36:37], v[0:1], a[32:47]
	;; [unrolled: 1-line block ×3, first 2 shown]
	s_and_saveexec_b64 s[6:7], s[4:5]
	s_cbranch_execz .LBB1_44
; %bb.88:                               ;   in Loop: Header=BB1_45 Depth=1
	buffer_load_dword v0, off, s[0:3], s32 offset:1072 ; 4-byte Folded Reload
	s_waitcnt vmcnt(0)
	v_readfirstlane_b32 s4, v0
	buffer_load_dword v0, off, s[0:3], s32 offset:1532 ; 4-byte Folded Reload
	buffer_load_dword v8, off, s[0:3], s32 offset:1332 ; 4-byte Folded Reload
	buffer_load_dword v1, off, s[0:3], s32 offset:1524 ; 4-byte Folded Reload
	buffer_load_dword v6, off, s[0:3], s32 offset:1568 ; 4-byte Folded Reload
	buffer_load_dword v7, off, s[0:3], s32 offset:1572 ; 4-byte Folded Reload
	s_waitcnt vmcnt(3)
	v_add3_u32 v0, v8, v0, s4
	s_waitcnt vmcnt(0)
	v_mad_u64_u32 v[0:1], s[4:5], v0, v1, v[6:7]
	buffer_load_dword v1, off, s[0:3], s32 offset:1328 ; 4-byte Folded Reload
	v_mov_b32_e32 v6, v0
	v_lshlrev_b32_e32 v0, 1, v0
	s_waitcnt vmcnt(0)
	v_readfirstlane_b32 s4, v1
	;;#ASMSTART
	s_mov_b32 m0, s4
	;;#ASMEND
	buffer_store_dword v6, off, s[0:3], s32 offset:1084 ; 4-byte Folded Spill
	s_nop 0
	buffer_store_dword v7, off, s[0:3], s32 offset:1088 ; 4-byte Folded Spill
	;;#ASMSTART
	buffer_load_dword v0, v[2:5], 0 offen offset:0 lds
	;;#ASMEND
	;;#ASMSTART
	s_add_u32 m0, 0x440, m0
	;;#ASMEND
	v_add_u32_e32 v0, v0, v94
	;;#ASMSTART
	buffer_load_dword v0, v[2:5], 0 offen offset:0 lds
	;;#ASMEND
	;;#ASMSTART
	s_add_u32 m0, 0x440, m0
	;;#ASMEND
	v_add_u32_e32 v0, v0, v94
	;; [unrolled: 7-line block ×7, first 2 shown]
	;;#ASMSTART
	buffer_load_dword v0, v[2:5], 0 offen offset:0 lds
	;;#ASMEND
	buffer_store_dword v8, off, s[0:3], s32 offset:1136 ; 4-byte Folded Spill
	s_branch .LBB1_44
.LBB1_89:
	s_or_b64 exec, exec, s[18:19]
	v_log_f32_e32 v4, v49
	s_mov_b32 s4, 0x3f317217
	v_accvgpr_read_b32 v2, a103
	v_cvt_f64_f32_e32 v[2:3], v2
	v_mul_f32_e32 v5, 0x3f317217, v4
	v_fma_f32 v5, v4, s4, -v5
	v_fmac_f32_e32 v5, 0x3377d1cf, v4
	s_mov_b32 s4, 0x7f800000
	v_mac_f32_e32 v5, 0x3f317217, v4
	v_cmp_lt_f32_e64 vcc, |v4|, s4
	v_cndmask_b32_e32 v4, v4, v5, vcc
	s_mov_b32 s4, 0x3f1ff27
	v_cvt_f64_f32_e32 v[4:5], v4
	s_mov_b32 s5, 0x3fe62e43
	v_fmac_f64_e32 v[4:5], s[4:5], v[2:3]
	buffer_load_dword v3, off, s[0:3], s32 offset:1072 ; 4-byte Folded Reload
	v_accvgpr_read_b32 v41, a15
	v_accvgpr_read_b32 v33, a7
	;; [unrolled: 1-line block ×5, first 2 shown]
	v_cvt_f32_f64_e32 v2, v[4:5]
	v_accvgpr_read_b32 v5, a92
	v_accvgpr_read_b32 v29, a3
	;; [unrolled: 1-line block ×5, first 2 shown]
	s_mov_b64 s[6:7], exec
	v_accvgpr_read_b32 v40, a14
	v_accvgpr_read_b32 v39, a13
	;; [unrolled: 1-line block ×7, first 2 shown]
	s_waitcnt vmcnt(0)
	v_readfirstlane_b32 s4, v3
	buffer_load_dword v3, off, s[0:3], s32 offset:1080 ; 4-byte Folded Reload
	buffer_load_dword v30, off, s[0:3], s32 offset:1616 ; 4-byte Folded Reload
	;; [unrolled: 1-line block ×5, first 2 shown]
	s_waitcnt vmcnt(1)
	v_lshlrev_b32_e32 v32, 2, v5
	s_waitcnt vmcnt(0)
	v_mov_b32_e32 v33, 0x20000
	v_lshl_add_u32 v3, s4, 5, v3
	v_cmp_le_i32_e32 vcc, v5, v3
	v_lshlrev_b32_e32 v4, 2, v3
	v_cndmask_b32_e64 v3, 0, 1, vcc
	v_lshl_add_u32 v3, v3, 31, v4
.LBB1_90:                               ; =>This Inner Loop Header: Depth=1
	v_readfirstlane_b32 s8, v30
	v_readfirstlane_b32 s9, v31
	;; [unrolled: 1-line block ×4, first 2 shown]
	v_cmp_eq_u64_e32 vcc, s[8:9], v[30:31]
	v_cmp_eq_u64_e64 s[4:5], s[10:11], v[32:33]
	s_and_b64 s[4:5], vcc, s[4:5]
	s_and_saveexec_b64 s[4:5], s[4:5]
	s_nop 0
	buffer_store_dword v2, v3, s[8:11], 0 offen
                                        ; implicit-def: $vgpr30_vgpr31_vgpr32_vgpr33
                                        ; implicit-def: $vgpr2
                                        ; implicit-def: $vgpr3
	s_xor_b64 exec, exec, s[4:5]
	s_cbranch_execnz .LBB1_90
; %bb.91:
	s_mov_b64 exec, s[6:7]
	v_div_scale_f32 v2, s[4:5], v49, v49, 1.0
	v_rcp_f32_e32 v3, v2
	v_div_scale_f32 v4, vcc, 1.0, v49, 1.0
	s_setreg_imm32_b32 hwreg(HW_REG_MODE, 4, 2), 3
	v_fma_f32 v5, -v2, v3, 1.0
	v_fmac_f32_e32 v3, v5, v3
	v_mul_f32_e32 v5, v4, v3
	v_fma_f32 v22, -v2, v5, v4
	v_fmac_f32_e32 v5, v22, v3
	v_fma_f32 v2, -v2, v5, v4
	s_setreg_imm32_b32 hwreg(HW_REG_MODE, 4, 2), 0
	v_div_fmas_f32 v2, v2, v3, v5
	v_div_fixup_f32 v2, v2, v49, 1.0
	v_cmp_neq_f32_e32 vcc, 0, v49
	v_cndmask_b32_e32 v2, 0, v2, vcc
	v_mov_b32_e32 v4, v27
	v_mov_b32_e32 v5, v28
	;; [unrolled: 1-line block ×3, first 2 shown]
	v_pk_mul_f32 v[92:93], v[2:3], v[4:5] op_sel_hi:[0,1]
	v_pk_mul_f32 v[94:95], v[2:3], v[26:27] op_sel_hi:[0,1]
	;; [unrolled: 1-line block ×32, first 2 shown]
                                        ; implicit-def: $vgpr1
                                        ; implicit-def: $vgpr16
                                        ; implicit-def: $vgpr48
                                        ; implicit-def: $vgpr72
.LBB1_92:
	s_or_saveexec_b64 s[6:7], s[16:17]
	buffer_load_dword v49, off, s[0:3], s32 offset:1580 ; 4-byte Folded Reload
	buffer_load_dword v5, off, s[0:3], s32 offset:1072 ; 4-byte Folded Reload
	;; [unrolled: 1-line block ×3, first 2 shown]
	s_xor_b64 exec, exec, s[6:7]
	s_cbranch_execz .LBB1_96
; %bb.93:
	;;#ASMSTART
	s_waitcnt vmcnt(0)
	;;#ASMEND
	buffer_load_dword v2, off, s[0:3], s32 offset:1080 ; 4-byte Folded Reload
	s_waitcnt vmcnt(2)
	v_readfirstlane_b32 s4, v5
	v_accvgpr_read_b32 v4, a92
	v_mul_f32_e32 v0, v16, v48
	v_lshlrev_b32_e32 v74, 2, v4
	v_mov_b32_e32 v75, 0x20000
	s_mov_b64 s[16:17], exec
	s_waitcnt vmcnt(0)
	v_lshl_add_u32 v2, s4, 5, v2
	v_cmp_le_i32_e32 vcc, v4, v2
	v_lshlrev_b32_e32 v3, 2, v2
	v_cndmask_b32_e64 v2, 0, 1, vcc
	v_lshl_add_u32 v2, v2, 31, v3
.LBB1_94:                               ; =>This Inner Loop Header: Depth=1
	v_readfirstlane_b32 s8, v72
	v_readfirstlane_b32 s9, v73
	;; [unrolled: 1-line block ×4, first 2 shown]
	v_cmp_eq_u64_e32 vcc, s[8:9], v[72:73]
	v_cmp_eq_u64_e64 s[4:5], s[10:11], v[74:75]
	s_and_b64 s[4:5], vcc, s[4:5]
	s_and_saveexec_b64 s[4:5], s[4:5]
	s_nop 0
	buffer_store_dword v0, v2, s[8:11], 0 offen
                                        ; implicit-def: $vgpr72_vgpr73_vgpr74_vgpr75
                                        ; implicit-def: $vgpr0
                                        ; implicit-def: $vgpr2
	s_xor_b64 exec, exec, s[4:5]
	s_cbranch_execnz .LBB1_94
; %bb.95:
	s_mov_b64 exec, s[16:17]
	v_lshrrev_b32_e32 v10, 3, v1
	v_mov_b32_e32 v92, 0
	v_mov_b32_e32 v93, 0
	;; [unrolled: 1-line block ×64, first 2 shown]
.LBB1_96:
	s_or_b64 exec, exec, s[6:7]
	buffer_load_dword v0, off, s[0:3], s32 offset:1596 ; 4-byte Folded Reload
	buffer_load_dword v2, off, s[0:3], s32 offset:1604 ; 4-byte Folded Reload
	s_waitcnt vmcnt(1)
	v_mad_i64_i32 v[0:1], s[4:5], v0, s12, 0
	v_lshlrev_b64 v[0:1], 1, v[0:1]
	s_waitcnt vmcnt(0)
	v_add_co_u32_e32 v2, vcc, v2, v0
	buffer_load_dword v0, off, s[0:3], s32 offset:1600 ; 4-byte Folded Reload
	s_waitcnt vmcnt(0)
	v_addc_co_u32_e32 v3, vcc, v0, v1, vcc
	buffer_load_dword v0, off, s[0:3], s32 offset:1608 ; 4-byte Folded Reload
	s_waitcnt vmcnt(0)
	v_mad_i64_i32 v[0:1], s[4:5], v0, s14, 0
	v_lshlrev_b64 v[0:1], 1, v[0:1]
	v_add_co_u32_e32 v0, vcc, v2, v0
	v_addc_co_u32_e32 v1, vcc, v3, v1, vcc
	buffer_load_dword v3, off, s[0:3], s32 offset:1592 ; 4-byte Folded Reload
	buffer_load_dword v2, off, s[0:3], s32 offset:1584 ; 4-byte Folded Reload
	;; [unrolled: 1-line block ×3, first 2 shown]
	v_readfirstlane_b32 s4, v5
	buffer_load_dword v5, off, s[0:3], s32 offset:1080 ; 4-byte Folded Reload
	s_waitcnt vmcnt(2)
	v_mul_lo_u32 v2, v3, v2
	s_waitcnt vmcnt(1)
	v_add_co_u32_e32 v4, vcc, v2, v4
	v_and_b32_e32 v2, 0x1ffffffc, v10
	s_waitcnt vmcnt(0)
	v_lshl_add_u32 v5, s4, 5, v5
	v_add_u32_e32 v14, s24, v2
	v_mad_u64_u32 v[2:3], s[4:5], v5, v3, v[14:15]
	v_accvgpr_read_b32 v3, a92
	v_cmp_gt_i32_e64 s[4:5], v49, v14
	v_cmp_gt_i32_e32 vcc, v3, v5
	s_and_b64 s[4:5], s[4:5], vcc
	v_lshlrev_b32_e32 v15, 1, v2
	v_lshlrev_b32_e32 v19, 1, v4
	v_bfe_u32 v23, v4, 7, 24
	v_lshrrev_b32_e32 v18, 15, v4
	v_bfe_u32 v22, v4, 23, 8
	s_and_saveexec_b64 s[12:13], s[4:5]
	s_cbranch_execz .LBB1_100
; %bb.97:
	v_cvt_f16_f32_e32 v2, v94
	v_cvt_f16_f32_e32 v3, v92
	;; [unrolled: 1-line block ×4, first 2 shown]
	s_mov_b32 s4, 0x5040100
	v_pack_b32_f16 v16, v2, v3
	v_lshlrev_b16_e32 v2, 8, v23
	v_and_b32_e32 v3, 0xfe, v19
	v_or_b32_e32 v2, v3, v2
	v_lshlrev_b16_e32 v3, 8, v22
	v_or_b32_sdwa v3, v18, v3 dst_sel:WORD_1 dst_unused:UNUSED_PAD src0_sel:BYTE_0 src1_sel:DWORD
	v_perm_b32 v17, v4, v5, s4
	v_or_b32_sdwa v4, v2, v3 dst_sel:DWORD dst_unused:UNUSED_PAD src0_sel:WORD_0 src1_sel:DWORD
	v_mov_b32_e32 v5, 0x20000
	s_mov_b64 s[14:15], exec
.LBB1_98:                               ; =>This Inner Loop Header: Depth=1
	v_readfirstlane_b32 s8, v0
	v_readfirstlane_b32 s9, v1
	v_readfirstlane_b32 s10, v4
	v_readfirstlane_b32 s11, v5
	v_cmp_eq_u64_e64 s[4:5], s[8:9], v[0:1]
	v_cmp_eq_u64_e64 s[6:7], s[10:11], v[4:5]
	s_and_b64 s[4:5], s[4:5], s[6:7]
	s_and_saveexec_b64 s[4:5], s[4:5]
	s_nop 0
	buffer_store_dwordx2 v[16:17], v15, s[8:11], 0 offen
                                        ; implicit-def: $vgpr16_vgpr17
                                        ; implicit-def: $vgpr2_vgpr3_vgpr4_vgpr5
	s_xor_b64 exec, exec, s[4:5]
	s_cbranch_execnz .LBB1_98
; %bb.99:
	s_mov_b64 exec, s[14:15]
.LBB1_100:
	s_or_b64 exec, exec, s[12:13]
	v_add_u32_e32 v2, 8, v14
	v_cmp_gt_i32_e64 s[4:5], v49, v2
	s_and_b64 s[4:5], s[4:5], vcc
	s_and_saveexec_b64 s[12:13], s[4:5]
	s_cbranch_execz .LBB1_104
; %bb.101:
	v_cvt_f16_f32_e32 v2, v36
	v_cvt_f16_f32_e32 v3, v90
	v_cvt_f16_f32_e32 v4, v91
	v_cvt_f16_f32_e32 v5, v37
	s_mov_b64 s[14:15], exec
	v_pack_b32_f16 v17, v3, v4
	v_pack_b32_f16 v16, v2, v5
	v_lshlrev_b16_e32 v2, 8, v23
	v_and_b32_e32 v3, 0xfe, v19
	v_or_b32_e32 v2, v3, v2
	v_lshlrev_b16_e32 v3, 8, v22
	v_or_b32_sdwa v3, v18, v3 dst_sel:WORD_1 dst_unused:UNUSED_PAD src0_sel:BYTE_0 src1_sel:DWORD
	v_or_b32_sdwa v4, v2, v3 dst_sel:DWORD dst_unused:UNUSED_PAD src0_sel:WORD_0 src1_sel:DWORD
	v_mov_b32_e32 v5, 0x20000
.LBB1_102:                              ; =>This Inner Loop Header: Depth=1
	v_readfirstlane_b32 s8, v0
	v_readfirstlane_b32 s9, v1
	v_readfirstlane_b32 s10, v4
	v_readfirstlane_b32 s11, v5
	v_cmp_eq_u64_e64 s[4:5], s[8:9], v[0:1]
	v_cmp_eq_u64_e64 s[6:7], s[10:11], v[4:5]
	s_and_b64 s[4:5], s[4:5], s[6:7]
	s_and_saveexec_b64 s[4:5], s[4:5]
	s_nop 0
	buffer_store_dwordx2 v[16:17], v15, s[8:11], 0 offen offset:16
                                        ; implicit-def: $vgpr16_vgpr17
                                        ; implicit-def: $vgpr2_vgpr3_vgpr4_vgpr5
	s_xor_b64 exec, exec, s[4:5]
	s_cbranch_execnz .LBB1_102
; %bb.103:
	s_mov_b64 exec, s[14:15]
.LBB1_104:
	s_or_b64 exec, exec, s[12:13]
	v_add_u32_e32 v2, 16, v14
	v_cmp_gt_i32_e64 s[4:5], v49, v2
	s_and_b64 s[4:5], s[4:5], vcc
	s_and_saveexec_b64 s[12:13], s[4:5]
	s_cbranch_execz .LBB1_108
; %bb.105:
	v_cvt_f16_f32_e32 v2, v32
	v_cvt_f16_f32_e32 v3, v34
	v_cvt_f16_f32_e32 v4, v35
	v_cvt_f16_f32_e32 v5, v33
	s_mov_b64 s[14:15], exec
	v_pack_b32_f16 v17, v3, v4
	v_pack_b32_f16 v16, v2, v5
	v_lshlrev_b16_e32 v2, 8, v23
	v_and_b32_e32 v3, 0xfe, v19
	v_or_b32_e32 v2, v3, v2
	v_lshlrev_b16_e32 v3, 8, v22
	v_or_b32_sdwa v3, v18, v3 dst_sel:WORD_1 dst_unused:UNUSED_PAD src0_sel:BYTE_0 src1_sel:DWORD
	v_or_b32_sdwa v4, v2, v3 dst_sel:DWORD dst_unused:UNUSED_PAD src0_sel:WORD_0 src1_sel:DWORD
	v_mov_b32_e32 v5, 0x20000
.LBB1_106:                              ; =>This Inner Loop Header: Depth=1
	v_readfirstlane_b32 s8, v0
	v_readfirstlane_b32 s9, v1
	v_readfirstlane_b32 s10, v4
	v_readfirstlane_b32 s11, v5
	v_cmp_eq_u64_e64 s[4:5], s[8:9], v[0:1]
	v_cmp_eq_u64_e64 s[6:7], s[10:11], v[4:5]
	s_and_b64 s[4:5], s[4:5], s[6:7]
	s_and_saveexec_b64 s[4:5], s[4:5]
	s_nop 0
	buffer_store_dwordx2 v[16:17], v15, s[8:11], 0 offen offset:32
                                        ; implicit-def: $vgpr16_vgpr17
                                        ; implicit-def: $vgpr2_vgpr3_vgpr4_vgpr5
	s_xor_b64 exec, exec, s[4:5]
	s_cbranch_execnz .LBB1_106
; %bb.107:
	s_mov_b64 exec, s[14:15]
.LBB1_108:
	;; [unrolled: 39-line block ×3, first 2 shown]
	s_or_b64 exec, exec, s[12:13]
	v_add_u32_e32 v2, 32, v14
	v_cmp_gt_i32_e64 s[4:5], v49, v2
	s_and_b64 s[4:5], s[4:5], vcc
	s_and_saveexec_b64 s[12:13], s[4:5]
	s_cbranch_execz .LBB1_116
; %bb.113:
	v_cvt_f16_f32_e32 v2, v52
	v_cvt_f16_f32_e32 v3, v26
	;; [unrolled: 1-line block ×4, first 2 shown]
	s_mov_b64 s[14:15], exec
	v_pack_b32_f16 v11, v3, v4
	v_pack_b32_f16 v10, v2, v5
	v_lshlrev_b16_e32 v2, 8, v23
	v_and_b32_e32 v3, 0xfe, v19
	v_or_b32_e32 v2, v3, v2
	v_lshlrev_b16_e32 v3, 8, v22
	v_or_b32_sdwa v3, v18, v3 dst_sel:WORD_1 dst_unused:UNUSED_PAD src0_sel:BYTE_0 src1_sel:DWORD
	v_or_b32_sdwa v4, v2, v3 dst_sel:DWORD dst_unused:UNUSED_PAD src0_sel:WORD_0 src1_sel:DWORD
	v_mov_b32_e32 v5, 0x20000
.LBB1_114:                              ; =>This Inner Loop Header: Depth=1
	v_readfirstlane_b32 s8, v0
	v_readfirstlane_b32 s9, v1
	;; [unrolled: 1-line block ×4, first 2 shown]
	v_cmp_eq_u64_e64 s[4:5], s[8:9], v[0:1]
	v_cmp_eq_u64_e64 s[6:7], s[10:11], v[4:5]
	s_and_b64 s[4:5], s[4:5], s[6:7]
	s_and_saveexec_b64 s[4:5], s[4:5]
	s_nop 0
	buffer_store_dwordx2 v[10:11], v15, s[8:11], 0 offen offset:64
                                        ; implicit-def: $vgpr10_vgpr11
                                        ; implicit-def: $vgpr2_vgpr3_vgpr4_vgpr5
	s_xor_b64 exec, exec, s[4:5]
	s_cbranch_execnz .LBB1_114
; %bb.115:
	s_mov_b64 exec, s[14:15]
.LBB1_116:
	s_or_b64 exec, exec, s[12:13]
	v_add_u32_e32 v2, 40, v14
	v_cmp_gt_i32_e64 s[4:5], v49, v2
	s_and_b64 s[4:5], s[4:5], vcc
	s_and_saveexec_b64 s[12:13], s[4:5]
	s_cbranch_execz .LBB1_120
; %bb.117:
	v_cvt_f16_f32_e32 v2, v56
	v_cvt_f16_f32_e32 v3, v6
	v_cvt_f16_f32_e32 v4, v7
	v_cvt_f16_f32_e32 v5, v57
	s_mov_b64 s[14:15], exec
	v_pack_b32_f16 v7, v3, v4
	v_pack_b32_f16 v6, v2, v5
	v_lshlrev_b16_e32 v2, 8, v23
	v_and_b32_e32 v3, 0xfe, v19
	v_or_b32_e32 v2, v3, v2
	v_lshlrev_b16_e32 v3, 8, v22
	v_or_b32_sdwa v3, v18, v3 dst_sel:WORD_1 dst_unused:UNUSED_PAD src0_sel:BYTE_0 src1_sel:DWORD
	v_or_b32_sdwa v4, v2, v3 dst_sel:DWORD dst_unused:UNUSED_PAD src0_sel:WORD_0 src1_sel:DWORD
	v_mov_b32_e32 v5, 0x20000
.LBB1_118:                              ; =>This Inner Loop Header: Depth=1
	v_readfirstlane_b32 s8, v0
	v_readfirstlane_b32 s9, v1
	v_readfirstlane_b32 s10, v4
	v_readfirstlane_b32 s11, v5
	v_cmp_eq_u64_e64 s[4:5], s[8:9], v[0:1]
	v_cmp_eq_u64_e64 s[6:7], s[10:11], v[4:5]
	s_and_b64 s[4:5], s[4:5], s[6:7]
	s_and_saveexec_b64 s[4:5], s[4:5]
	s_nop 0
	buffer_store_dwordx2 v[6:7], v15, s[8:11], 0 offen offset:80
                                        ; implicit-def: $vgpr6_vgpr7
                                        ; implicit-def: $vgpr2_vgpr3_vgpr4_vgpr5
	s_xor_b64 exec, exec, s[4:5]
	s_cbranch_execnz .LBB1_118
; %bb.119:
	s_mov_b64 exec, s[14:15]
.LBB1_120:
	s_or_b64 exec, exec, s[12:13]
	v_add_u32_e32 v2, 48, v14
	v_cmp_gt_i32_e64 s[4:5], v49, v2
	s_and_b64 s[4:5], s[4:5], vcc
	s_and_saveexec_b64 s[12:13], s[4:5]
	s_cbranch_execz .LBB1_124
; %bb.121:
	v_cvt_f16_f32_e32 v2, v44
	v_cvt_f16_f32_e32 v3, v46
	v_cvt_f16_f32_e32 v4, v47
	v_cvt_f16_f32_e32 v5, v45
	s_mov_b64 s[14:15], exec
	v_pack_b32_f16 v7, v3, v4
	v_pack_b32_f16 v6, v2, v5
	v_lshlrev_b16_e32 v2, 8, v23
	v_and_b32_e32 v3, 0xfe, v19
	v_or_b32_e32 v2, v3, v2
	v_lshlrev_b16_e32 v3, 8, v22
	v_or_b32_sdwa v3, v18, v3 dst_sel:WORD_1 dst_unused:UNUSED_PAD src0_sel:BYTE_0 src1_sel:DWORD
	v_or_b32_sdwa v4, v2, v3 dst_sel:DWORD dst_unused:UNUSED_PAD src0_sel:WORD_0 src1_sel:DWORD
	v_mov_b32_e32 v5, 0x20000
.LBB1_122:                              ; =>This Inner Loop Header: Depth=1
	v_readfirstlane_b32 s8, v0
	v_readfirstlane_b32 s9, v1
	v_readfirstlane_b32 s10, v4
	v_readfirstlane_b32 s11, v5
	v_cmp_eq_u64_e64 s[4:5], s[8:9], v[0:1]
	v_cmp_eq_u64_e64 s[6:7], s[10:11], v[4:5]
	s_and_b64 s[4:5], s[4:5], s[6:7]
	s_and_saveexec_b64 s[4:5], s[4:5]
	s_nop 0
	buffer_store_dwordx2 v[6:7], v15, s[8:11], 0 offen offset:96
                                        ; implicit-def: $vgpr6_vgpr7
                                        ; implicit-def: $vgpr2_vgpr3_vgpr4_vgpr5
	s_xor_b64 exec, exec, s[4:5]
	s_cbranch_execnz .LBB1_122
; %bb.123:
	s_mov_b64 exec, s[14:15]
.LBB1_124:
	;; [unrolled: 39-line block ×10, first 2 shown]
	s_or_b64 exec, exec, s[12:13]
	v_add_u32_e32 v2, 0x78, v14
	v_cmp_gt_i32_e64 s[4:5], v49, v2
	s_and_b64 s[4:5], s[4:5], vcc
	s_and_saveexec_b64 s[6:7], s[4:5]
	s_cbranch_execz .LBB1_160
; %bb.157:
	v_cvt_f16_f32_e32 v2, v60
	v_cvt_f16_f32_e32 v3, v8
	;; [unrolled: 1-line block ×4, first 2 shown]
	s_mov_b64 s[12:13], exec
	v_pack_b32_f16 v5, v3, v4
	v_pack_b32_f16 v4, v2, v6
	v_lshlrev_b16_e32 v2, 8, v23
	v_and_b32_e32 v3, 0xfe, v19
	v_or_b32_e32 v2, v3, v2
	v_lshlrev_b16_e32 v3, 8, v22
	v_or_b32_sdwa v3, v18, v3 dst_sel:WORD_1 dst_unused:UNUSED_PAD src0_sel:BYTE_0 src1_sel:DWORD
	v_or_b32_sdwa v2, v2, v3 dst_sel:DWORD dst_unused:UNUSED_PAD src0_sel:WORD_0 src1_sel:DWORD
	v_mov_b32_e32 v3, 0x20000
.LBB1_158:                              ; =>This Inner Loop Header: Depth=1
	v_readfirstlane_b32 s8, v0
	v_readfirstlane_b32 s9, v1
	;; [unrolled: 1-line block ×4, first 2 shown]
	v_cmp_eq_u64_e32 vcc, s[8:9], v[0:1]
	v_cmp_eq_u64_e64 s[4:5], s[10:11], v[2:3]
	s_and_b64 s[4:5], vcc, s[4:5]
	s_and_saveexec_b64 s[4:5], s[4:5]
	s_nop 0
	buffer_store_dwordx2 v[4:5], v15, s[8:11], 0 offen offset:240
                                        ; implicit-def: $vgpr0_vgpr1_vgpr2_vgpr3
                                        ; implicit-def: $vgpr4_vgpr5
                                        ; implicit-def: $vgpr15
	s_xor_b64 exec, exec, s[4:5]
	s_cbranch_execnz .LBB1_158
; %bb.159:
	s_mov_b64 exec, s[12:13]
.LBB1_160:
	s_or_b64 exec, exec, s[6:7]
	;;#ASMSTART
	s_waitcnt vmcnt(0)
	;;#ASMEND
	buffer_load_dword a127, off, s[0:3], s32 offset:108 ; 4-byte Folded Reload
	buffer_load_dword a126, off, s[0:3], s32 offset:112 ; 4-byte Folded Reload
	;; [unrolled: 1-line block ×143, first 2 shown]
	v_readlane_b32 s30, v127, 17
	v_readlane_b32 s31, v127, 18
	;; [unrolled: 1-line block ×19, first 2 shown]
	s_or_saveexec_b64 s[4:5], -1
	buffer_load_dword v127, off, s[0:3], s32 offset:1632 ; 4-byte Folded Reload
	s_mov_b64 exec, s[4:5]
	s_waitcnt vmcnt(0)
	s_setpc_b64 s[30:31]
.Lfunc_end1:
	.size	_ZNK7ck_tile13FmhaFwdKernelINS_28BlockFmhaPipelineQRKSVSAsyncINS_24BlockFmhaPipelineProblemIDF16_DF16_DF16_ffDF16_hfDF16_fDF16_NS_13TileFmhaShapeINS_8sequenceIJLi128ELi128ELi32ELi128ELi32ELi128EEEENS4_IJLi4ELi1ELi1EEEENS4_IJLi32ELi32ELi16EEEES6_S7_Lb1EEELb0ENS_17ComposedAttentionILj4ELb1EEENS_30SimplifiedGenericAttentionMaskILb1EEELb0ENS_14TileFmhaTraitsILb1ELb0ELb1ELb1ELb1ELNS_22BlockAttentionBiasEnumE0ELb0ELb1ELb1ELNS_28BlockAttentionQuantScaleEnumE0ELin1ELb0ELb0EEEEENS_35BlockFmhaPipelineQXKSVSCustomPolicyILb1ELb1ELi3ELi3EEEEENS_17Default2DEpilogueINS_24Default2DEpilogueProblemIfDF16_Lb1ELb1ELb1EEEvEEE4run_ENSP_21FmhaFwdBatchModeKargsE, .Lfunc_end1-_ZNK7ck_tile13FmhaFwdKernelINS_28BlockFmhaPipelineQRKSVSAsyncINS_24BlockFmhaPipelineProblemIDF16_DF16_DF16_ffDF16_hfDF16_fDF16_NS_13TileFmhaShapeINS_8sequenceIJLi128ELi128ELi32ELi128ELi32ELi128EEEENS4_IJLi4ELi1ELi1EEEENS4_IJLi32ELi32ELi16EEEES6_S7_Lb1EEELb0ENS_17ComposedAttentionILj4ELb1EEENS_30SimplifiedGenericAttentionMaskILb1EEELb0ENS_14TileFmhaTraitsILb1ELb0ELb1ELb1ELb1ELNS_22BlockAttentionBiasEnumE0ELb0ELb1ELb1ELNS_28BlockAttentionQuantScaleEnumE0ELin1ELb0ELb0EEEEENS_35BlockFmhaPipelineQXKSVSCustomPolicyILb1ELb1ELi3ELi3EEEEENS_17Default2DEpilogueINS_24Default2DEpilogueProblemIfDF16_Lb1ELb1ELb1EEEvEEE4run_ENSP_21FmhaFwdBatchModeKargsE
                                        ; -- End function
	.section	.AMDGPU.csdata,"",@progbits
; Function info:
; codeLenInByte = 31588
; NumSgprs: 55
; NumVgprs: 128
; NumAgprs: 128
; TotalNumVgprs: 256
; ScratchSize: 1648
; MemoryBound: 0
	.section	.text._ZN7ck_tile6kentryINS_6gfx9_tELi2ENS_13FmhaFwdKernelINS_28BlockFmhaPipelineQRKSVSAsyncINS_24BlockFmhaPipelineProblemIDF16_DF16_DF16_ffDF16_hfDF16_fDF16_NS_13TileFmhaShapeINS_8sequenceIJLi128ELi128ELi32ELi128ELi32ELi128EEEENS6_IJLi4ELi1ELi1EEEENS6_IJLi32ELi32ELi16EEEES8_S9_Lb1EEELb0ENS_17ComposedAttentionILj4ELb1EEENS_30SimplifiedGenericAttentionMaskILb1EEELb0ENS_14TileFmhaTraitsILb1ELb0ELb1ELb1ELb1ELNS_22BlockAttentionBiasEnumE0ELb0ELb1ELb1ELNS_28BlockAttentionQuantScaleEnumE0ELin1ELb0ELb0EEEEENS_35BlockFmhaPipelineQXKSVSCustomPolicyILb1ELb1ELi3ELi3EEEEENS_17Default2DEpilogueINS_24Default2DEpilogueProblemIfDF16_Lb1ELb1ELb1EEEvEEEEJNSR_21FmhaFwdBatchModeKargsEEEENSt9enable_ifIXnt26kattr_no_packed_fp32_ops_vIT_EEvE4typeEDpT2_,"axG",@progbits,_ZN7ck_tile6kentryINS_6gfx9_tELi2ENS_13FmhaFwdKernelINS_28BlockFmhaPipelineQRKSVSAsyncINS_24BlockFmhaPipelineProblemIDF16_DF16_DF16_ffDF16_hfDF16_fDF16_NS_13TileFmhaShapeINS_8sequenceIJLi128ELi128ELi32ELi128ELi32ELi128EEEENS6_IJLi4ELi1ELi1EEEENS6_IJLi32ELi32ELi16EEEES8_S9_Lb1EEELb0ENS_17ComposedAttentionILj4ELb1EEENS_30SimplifiedGenericAttentionMaskILb1EEELb0ENS_14TileFmhaTraitsILb1ELb0ELb1ELb1ELb1ELNS_22BlockAttentionBiasEnumE0ELb0ELb1ELb1ELNS_28BlockAttentionQuantScaleEnumE0ELin1ELb0ELb0EEEEENS_35BlockFmhaPipelineQXKSVSCustomPolicyILb1ELb1ELi3ELi3EEEEENS_17Default2DEpilogueINS_24Default2DEpilogueProblemIfDF16_Lb1ELb1ELb1EEEvEEEEJNSR_21FmhaFwdBatchModeKargsEEEENSt9enable_ifIXnt26kattr_no_packed_fp32_ops_vIT_EEvE4typeEDpT2_,comdat
	.protected	_ZN7ck_tile6kentryINS_6gfx9_tELi2ENS_13FmhaFwdKernelINS_28BlockFmhaPipelineQRKSVSAsyncINS_24BlockFmhaPipelineProblemIDF16_DF16_DF16_ffDF16_hfDF16_fDF16_NS_13TileFmhaShapeINS_8sequenceIJLi128ELi128ELi32ELi128ELi32ELi128EEEENS6_IJLi4ELi1ELi1EEEENS6_IJLi32ELi32ELi16EEEES8_S9_Lb1EEELb0ENS_17ComposedAttentionILj4ELb1EEENS_30SimplifiedGenericAttentionMaskILb1EEELb0ENS_14TileFmhaTraitsILb1ELb0ELb1ELb1ELb1ELNS_22BlockAttentionBiasEnumE0ELb0ELb1ELb1ELNS_28BlockAttentionQuantScaleEnumE0ELin1ELb0ELb0EEEEENS_35BlockFmhaPipelineQXKSVSCustomPolicyILb1ELb1ELi3ELi3EEEEENS_17Default2DEpilogueINS_24Default2DEpilogueProblemIfDF16_Lb1ELb1ELb1EEEvEEEEJNSR_21FmhaFwdBatchModeKargsEEEENSt9enable_ifIXnt26kattr_no_packed_fp32_ops_vIT_EEvE4typeEDpT2_ ; -- Begin function _ZN7ck_tile6kentryINS_6gfx9_tELi2ENS_13FmhaFwdKernelINS_28BlockFmhaPipelineQRKSVSAsyncINS_24BlockFmhaPipelineProblemIDF16_DF16_DF16_ffDF16_hfDF16_fDF16_NS_13TileFmhaShapeINS_8sequenceIJLi128ELi128ELi32ELi128ELi32ELi128EEEENS6_IJLi4ELi1ELi1EEEENS6_IJLi32ELi32ELi16EEEES8_S9_Lb1EEELb0ENS_17ComposedAttentionILj4ELb1EEENS_30SimplifiedGenericAttentionMaskILb1EEELb0ENS_14TileFmhaTraitsILb1ELb0ELb1ELb1ELb1ELNS_22BlockAttentionBiasEnumE0ELb0ELb1ELb1ELNS_28BlockAttentionQuantScaleEnumE0ELin1ELb0ELb0EEEEENS_35BlockFmhaPipelineQXKSVSCustomPolicyILb1ELb1ELi3ELi3EEEEENS_17Default2DEpilogueINS_24Default2DEpilogueProblemIfDF16_Lb1ELb1ELb1EEEvEEEEJNSR_21FmhaFwdBatchModeKargsEEEENSt9enable_ifIXnt26kattr_no_packed_fp32_ops_vIT_EEvE4typeEDpT2_
	.globl	_ZN7ck_tile6kentryINS_6gfx9_tELi2ENS_13FmhaFwdKernelINS_28BlockFmhaPipelineQRKSVSAsyncINS_24BlockFmhaPipelineProblemIDF16_DF16_DF16_ffDF16_hfDF16_fDF16_NS_13TileFmhaShapeINS_8sequenceIJLi128ELi128ELi32ELi128ELi32ELi128EEEENS6_IJLi4ELi1ELi1EEEENS6_IJLi32ELi32ELi16EEEES8_S9_Lb1EEELb0ENS_17ComposedAttentionILj4ELb1EEENS_30SimplifiedGenericAttentionMaskILb1EEELb0ENS_14TileFmhaTraitsILb1ELb0ELb1ELb1ELb1ELNS_22BlockAttentionBiasEnumE0ELb0ELb1ELb1ELNS_28BlockAttentionQuantScaleEnumE0ELin1ELb0ELb0EEEEENS_35BlockFmhaPipelineQXKSVSCustomPolicyILb1ELb1ELi3ELi3EEEEENS_17Default2DEpilogueINS_24Default2DEpilogueProblemIfDF16_Lb1ELb1ELb1EEEvEEEEJNSR_21FmhaFwdBatchModeKargsEEEENSt9enable_ifIXnt26kattr_no_packed_fp32_ops_vIT_EEvE4typeEDpT2_
	.p2align	8
	.type	_ZN7ck_tile6kentryINS_6gfx9_tELi2ENS_13FmhaFwdKernelINS_28BlockFmhaPipelineQRKSVSAsyncINS_24BlockFmhaPipelineProblemIDF16_DF16_DF16_ffDF16_hfDF16_fDF16_NS_13TileFmhaShapeINS_8sequenceIJLi128ELi128ELi32ELi128ELi32ELi128EEEENS6_IJLi4ELi1ELi1EEEENS6_IJLi32ELi32ELi16EEEES8_S9_Lb1EEELb0ENS_17ComposedAttentionILj4ELb1EEENS_30SimplifiedGenericAttentionMaskILb1EEELb0ENS_14TileFmhaTraitsILb1ELb0ELb1ELb1ELb1ELNS_22BlockAttentionBiasEnumE0ELb0ELb1ELb1ELNS_28BlockAttentionQuantScaleEnumE0ELin1ELb0ELb0EEEEENS_35BlockFmhaPipelineQXKSVSCustomPolicyILb1ELb1ELi3ELi3EEEEENS_17Default2DEpilogueINS_24Default2DEpilogueProblemIfDF16_Lb1ELb1ELb1EEEvEEEEJNSR_21FmhaFwdBatchModeKargsEEEENSt9enable_ifIXnt26kattr_no_packed_fp32_ops_vIT_EEvE4typeEDpT2_,@function
_ZN7ck_tile6kentryINS_6gfx9_tELi2ENS_13FmhaFwdKernelINS_28BlockFmhaPipelineQRKSVSAsyncINS_24BlockFmhaPipelineProblemIDF16_DF16_DF16_ffDF16_hfDF16_fDF16_NS_13TileFmhaShapeINS_8sequenceIJLi128ELi128ELi32ELi128ELi32ELi128EEEENS6_IJLi4ELi1ELi1EEEENS6_IJLi32ELi32ELi16EEEES8_S9_Lb1EEELb0ENS_17ComposedAttentionILj4ELb1EEENS_30SimplifiedGenericAttentionMaskILb1EEELb0ENS_14TileFmhaTraitsILb1ELb0ELb1ELb1ELb1ELNS_22BlockAttentionBiasEnumE0ELb0ELb1ELb1ELNS_28BlockAttentionQuantScaleEnumE0ELin1ELb0ELb0EEEEENS_35BlockFmhaPipelineQXKSVSCustomPolicyILb1ELb1ELi3ELi3EEEEENS_17Default2DEpilogueINS_24Default2DEpilogueProblemIfDF16_Lb1ELb1ELb1EEEvEEEEJNSR_21FmhaFwdBatchModeKargsEEEENSt9enable_ifIXnt26kattr_no_packed_fp32_ops_vIT_EEvE4typeEDpT2_: ; @_ZN7ck_tile6kentryINS_6gfx9_tELi2ENS_13FmhaFwdKernelINS_28BlockFmhaPipelineQRKSVSAsyncINS_24BlockFmhaPipelineProblemIDF16_DF16_DF16_ffDF16_hfDF16_fDF16_NS_13TileFmhaShapeINS_8sequenceIJLi128ELi128ELi32ELi128ELi32ELi128EEEENS6_IJLi4ELi1ELi1EEEENS6_IJLi32ELi32ELi16EEEES8_S9_Lb1EEELb0ENS_17ComposedAttentionILj4ELb1EEENS_30SimplifiedGenericAttentionMaskILb1EEELb0ENS_14TileFmhaTraitsILb1ELb0ELb1ELb1ELb1ELNS_22BlockAttentionBiasEnumE0ELb0ELb1ELb1ELNS_28BlockAttentionQuantScaleEnumE0ELin1ELb0ELb0EEEEENS_35BlockFmhaPipelineQXKSVSCustomPolicyILb1ELb1ELi3ELi3EEEEENS_17Default2DEpilogueINS_24Default2DEpilogueProblemIfDF16_Lb1ELb1ELb1EEEvEEEEJNSR_21FmhaFwdBatchModeKargsEEEENSt9enable_ifIXnt26kattr_no_packed_fp32_ops_vIT_EEvE4typeEDpT2_
; %bb.0:
	s_add_u32 flat_scratch_lo, s6, s11
	s_addc_u32 flat_scratch_hi, s7, 0
	s_add_u32 s0, s0, s11
	s_mov_b32 s12, s8
	s_load_dwordx8 s[36:43], s[4:5], 0x0
	s_load_dwordx2 s[6:7], s[4:5], 0x20
	s_load_dwordx16 s[16:31], s[4:5], 0x28
	s_load_dwordx4 s[64:67], s[4:5], 0xa8
	s_load_dword s11, s[4:5], 0x78
	s_load_dwordx4 s[60:63], s[4:5], 0x68
	s_load_dwordx8 s[44:51], s[4:5], 0x80
	s_load_dword s8, s[4:5], 0xa0
	s_mov_b32 s32, 0
	s_addc_u32 s1, s1, 0
	s_mov_b32 s13, s9
	s_waitcnt lgkmcnt(0)
	v_mov_b32_e32 v3, s44
	s_load_dwordx8 s[52:59], s[4:5], 0xb8
	s_load_dword s9, s[4:5], 0xd8
	s_load_dwordx4 s[68:71], s[4:5], 0xe0
	buffer_store_dword v3, off, s[0:3], s32
	v_mov_b32_e32 v3, s45
	buffer_store_dword v3, off, s[0:3], s32 offset:4
	v_mov_b32_e32 v3, s46
	buffer_store_dword v3, off, s[0:3], s32 offset:8
	;; [unrolled: 2-line block ×7, first 2 shown]
	v_mov_b32_e32 v3, s8
	v_mov_b32_e32 v1, s65
	buffer_store_short v3, off, s[0:3], s32 offset:32
	v_mov_b32_e32 v3, s64
	buffer_store_dword v3, off, s[0:3], s32 offset:36
	buffer_store_short v1, off, s[0:3], s32 offset:40
	v_mov_b32_e32 v1, s66
	buffer_store_dword v1, off, s[0:3], s32 offset:48
	v_mov_b32_e32 v1, s67
	buffer_store_dword v1, off, s[0:3], s32 offset:52
	s_waitcnt lgkmcnt(0)
	v_mov_b32_e32 v1, s52
	buffer_store_dword v1, off, s[0:3], s32 offset:56
	v_mov_b32_e32 v1, s53
	buffer_store_dword v1, off, s[0:3], s32 offset:60
	;; [unrolled: 2-line block ×11, first 2 shown]
	v_mov_b32_e32 v1, s70
	v_lshrrev_b16_e64 v2, 8, s65
	buffer_store_dword v1, off, s[0:3], s32 offset:100
	v_mov_b32_e32 v1, s71
	s_add_u32 s8, s4, 0xf0
	buffer_store_dword v1, off, s[0:3], s32 offset:104
	buffer_store_short v2, off, s[0:3], s32 offset:44
	s_addc_u32 s9, s5, 0
	s_mov_b32 s14, s10
	v_mov_b32_e32 v31, v0
	v_mov_b32_e32 v0, s36
	;; [unrolled: 1-line block ×32, first 2 shown]
	s_getpc_b64 s[4:5]
	s_add_u32 s4, s4, _ZNK7ck_tile13FmhaFwdKernelINS_28BlockFmhaPipelineQRKSVSAsyncINS_24BlockFmhaPipelineProblemIDF16_DF16_DF16_ffDF16_hfDF16_fDF16_NS_13TileFmhaShapeINS_8sequenceIJLi128ELi128ELi32ELi128ELi32ELi128EEEENS4_IJLi4ELi1ELi1EEEENS4_IJLi32ELi32ELi16EEEES6_S7_Lb1EEELb0ENS_17ComposedAttentionILj4ELb1EEENS_30SimplifiedGenericAttentionMaskILb1EEELb0ENS_14TileFmhaTraitsILb1ELb0ELb1ELb1ELb1ELNS_22BlockAttentionBiasEnumE0ELb0ELb1ELb1ELNS_28BlockAttentionQuantScaleEnumE0ELin1ELb0ELb0EEEEENS_35BlockFmhaPipelineQXKSVSCustomPolicyILb1ELb1ELi3ELi3EEEEENS_17Default2DEpilogueINS_24Default2DEpilogueProblemIfDF16_Lb1ELb1ELb1EEEvEEE4run_ENSP_21FmhaFwdBatchModeKargsE@rel32@lo+4
	s_addc_u32 s5, s5, _ZNK7ck_tile13FmhaFwdKernelINS_28BlockFmhaPipelineQRKSVSAsyncINS_24BlockFmhaPipelineProblemIDF16_DF16_DF16_ffDF16_hfDF16_fDF16_NS_13TileFmhaShapeINS_8sequenceIJLi128ELi128ELi32ELi128ELi32ELi128EEEENS4_IJLi4ELi1ELi1EEEENS4_IJLi32ELi32ELi16EEEES6_S7_Lb1EEELb0ENS_17ComposedAttentionILj4ELb1EEENS_30SimplifiedGenericAttentionMaskILb1EEELb0ENS_14TileFmhaTraitsILb1ELb0ELb1ELb1ELb1ELNS_22BlockAttentionBiasEnumE0ELb0ELb1ELb1ELNS_28BlockAttentionQuantScaleEnumE0ELin1ELb0ELb0EEEEENS_35BlockFmhaPipelineQXKSVSCustomPolicyILb1ELb1ELi3ELi3EEEEENS_17Default2DEpilogueINS_24Default2DEpilogueProblemIfDF16_Lb1ELb1ELb1EEEvEEE4run_ENSP_21FmhaFwdBatchModeKargsE@rel32@hi+12
	s_swappc_b64 s[30:31], s[4:5]
	s_endpgm
	.section	.rodata,"a",@progbits
	.p2align	6, 0x0
	.amdhsa_kernel _ZN7ck_tile6kentryINS_6gfx9_tELi2ENS_13FmhaFwdKernelINS_28BlockFmhaPipelineQRKSVSAsyncINS_24BlockFmhaPipelineProblemIDF16_DF16_DF16_ffDF16_hfDF16_fDF16_NS_13TileFmhaShapeINS_8sequenceIJLi128ELi128ELi32ELi128ELi32ELi128EEEENS6_IJLi4ELi1ELi1EEEENS6_IJLi32ELi32ELi16EEEES8_S9_Lb1EEELb0ENS_17ComposedAttentionILj4ELb1EEENS_30SimplifiedGenericAttentionMaskILb1EEELb0ENS_14TileFmhaTraitsILb1ELb0ELb1ELb1ELb1ELNS_22BlockAttentionBiasEnumE0ELb0ELb1ELb1ELNS_28BlockAttentionQuantScaleEnumE0ELin1ELb0ELb0EEEEENS_35BlockFmhaPipelineQXKSVSCustomPolicyILb1ELb1ELi3ELi3EEEEENS_17Default2DEpilogueINS_24Default2DEpilogueProblemIfDF16_Lb1ELb1ELb1EEEvEEEEJNSR_21FmhaFwdBatchModeKargsEEEENSt9enable_ifIXnt26kattr_no_packed_fp32_ops_vIT_EEvE4typeEDpT2_
		.amdhsa_group_segment_fixed_size 31776
		.amdhsa_private_segment_fixed_size 1648
		.amdhsa_kernarg_size 496
		.amdhsa_user_sgpr_count 8
		.amdhsa_user_sgpr_private_segment_buffer 1
		.amdhsa_user_sgpr_dispatch_ptr 0
		.amdhsa_user_sgpr_queue_ptr 0
		.amdhsa_user_sgpr_kernarg_segment_ptr 1
		.amdhsa_user_sgpr_dispatch_id 0
		.amdhsa_user_sgpr_flat_scratch_init 1
		.amdhsa_user_sgpr_kernarg_preload_length 0
		.amdhsa_user_sgpr_kernarg_preload_offset 0
		.amdhsa_user_sgpr_private_segment_size 0
		.amdhsa_uses_dynamic_stack 0
		.amdhsa_system_sgpr_private_segment_wavefront_offset 1
		.amdhsa_system_sgpr_workgroup_id_x 1
		.amdhsa_system_sgpr_workgroup_id_y 1
		.amdhsa_system_sgpr_workgroup_id_z 1
		.amdhsa_system_sgpr_workgroup_info 0
		.amdhsa_system_vgpr_workitem_id 0
		.amdhsa_next_free_vgpr 256
		.amdhsa_next_free_sgpr 72
		.amdhsa_accum_offset 128
		.amdhsa_reserve_vcc 1
		.amdhsa_reserve_flat_scratch 1
		.amdhsa_float_round_mode_32 0
		.amdhsa_float_round_mode_16_64 0
		.amdhsa_float_denorm_mode_32 0
		.amdhsa_float_denorm_mode_16_64 3
		.amdhsa_dx10_clamp 1
		.amdhsa_ieee_mode 1
		.amdhsa_fp16_overflow 0
		.amdhsa_tg_split 0
		.amdhsa_exception_fp_ieee_invalid_op 0
		.amdhsa_exception_fp_denorm_src 0
		.amdhsa_exception_fp_ieee_div_zero 0
		.amdhsa_exception_fp_ieee_overflow 0
		.amdhsa_exception_fp_ieee_underflow 0
		.amdhsa_exception_fp_ieee_inexact 0
		.amdhsa_exception_int_div_zero 0
	.end_amdhsa_kernel
	.section	.text._ZN7ck_tile6kentryINS_6gfx9_tELi2ENS_13FmhaFwdKernelINS_28BlockFmhaPipelineQRKSVSAsyncINS_24BlockFmhaPipelineProblemIDF16_DF16_DF16_ffDF16_hfDF16_fDF16_NS_13TileFmhaShapeINS_8sequenceIJLi128ELi128ELi32ELi128ELi32ELi128EEEENS6_IJLi4ELi1ELi1EEEENS6_IJLi32ELi32ELi16EEEES8_S9_Lb1EEELb0ENS_17ComposedAttentionILj4ELb1EEENS_30SimplifiedGenericAttentionMaskILb1EEELb0ENS_14TileFmhaTraitsILb1ELb0ELb1ELb1ELb1ELNS_22BlockAttentionBiasEnumE0ELb0ELb1ELb1ELNS_28BlockAttentionQuantScaleEnumE0ELin1ELb0ELb0EEEEENS_35BlockFmhaPipelineQXKSVSCustomPolicyILb1ELb1ELi3ELi3EEEEENS_17Default2DEpilogueINS_24Default2DEpilogueProblemIfDF16_Lb1ELb1ELb1EEEvEEEEJNSR_21FmhaFwdBatchModeKargsEEEENSt9enable_ifIXnt26kattr_no_packed_fp32_ops_vIT_EEvE4typeEDpT2_,"axG",@progbits,_ZN7ck_tile6kentryINS_6gfx9_tELi2ENS_13FmhaFwdKernelINS_28BlockFmhaPipelineQRKSVSAsyncINS_24BlockFmhaPipelineProblemIDF16_DF16_DF16_ffDF16_hfDF16_fDF16_NS_13TileFmhaShapeINS_8sequenceIJLi128ELi128ELi32ELi128ELi32ELi128EEEENS6_IJLi4ELi1ELi1EEEENS6_IJLi32ELi32ELi16EEEES8_S9_Lb1EEELb0ENS_17ComposedAttentionILj4ELb1EEENS_30SimplifiedGenericAttentionMaskILb1EEELb0ENS_14TileFmhaTraitsILb1ELb0ELb1ELb1ELb1ELNS_22BlockAttentionBiasEnumE0ELb0ELb1ELb1ELNS_28BlockAttentionQuantScaleEnumE0ELin1ELb0ELb0EEEEENS_35BlockFmhaPipelineQXKSVSCustomPolicyILb1ELb1ELi3ELi3EEEEENS_17Default2DEpilogueINS_24Default2DEpilogueProblemIfDF16_Lb1ELb1ELb1EEEvEEEEJNSR_21FmhaFwdBatchModeKargsEEEENSt9enable_ifIXnt26kattr_no_packed_fp32_ops_vIT_EEvE4typeEDpT2_,comdat
.Lfunc_end2:
	.size	_ZN7ck_tile6kentryINS_6gfx9_tELi2ENS_13FmhaFwdKernelINS_28BlockFmhaPipelineQRKSVSAsyncINS_24BlockFmhaPipelineProblemIDF16_DF16_DF16_ffDF16_hfDF16_fDF16_NS_13TileFmhaShapeINS_8sequenceIJLi128ELi128ELi32ELi128ELi32ELi128EEEENS6_IJLi4ELi1ELi1EEEENS6_IJLi32ELi32ELi16EEEES8_S9_Lb1EEELb0ENS_17ComposedAttentionILj4ELb1EEENS_30SimplifiedGenericAttentionMaskILb1EEELb0ENS_14TileFmhaTraitsILb1ELb0ELb1ELb1ELb1ELNS_22BlockAttentionBiasEnumE0ELb0ELb1ELb1ELNS_28BlockAttentionQuantScaleEnumE0ELin1ELb0ELb0EEEEENS_35BlockFmhaPipelineQXKSVSCustomPolicyILb1ELb1ELi3ELi3EEEEENS_17Default2DEpilogueINS_24Default2DEpilogueProblemIfDF16_Lb1ELb1ELb1EEEvEEEEJNSR_21FmhaFwdBatchModeKargsEEEENSt9enable_ifIXnt26kattr_no_packed_fp32_ops_vIT_EEvE4typeEDpT2_, .Lfunc_end2-_ZN7ck_tile6kentryINS_6gfx9_tELi2ENS_13FmhaFwdKernelINS_28BlockFmhaPipelineQRKSVSAsyncINS_24BlockFmhaPipelineProblemIDF16_DF16_DF16_ffDF16_hfDF16_fDF16_NS_13TileFmhaShapeINS_8sequenceIJLi128ELi128ELi32ELi128ELi32ELi128EEEENS6_IJLi4ELi1ELi1EEEENS6_IJLi32ELi32ELi16EEEES8_S9_Lb1EEELb0ENS_17ComposedAttentionILj4ELb1EEENS_30SimplifiedGenericAttentionMaskILb1EEELb0ENS_14TileFmhaTraitsILb1ELb0ELb1ELb1ELb1ELNS_22BlockAttentionBiasEnumE0ELb0ELb1ELb1ELNS_28BlockAttentionQuantScaleEnumE0ELin1ELb0ELb0EEEEENS_35BlockFmhaPipelineQXKSVSCustomPolicyILb1ELb1ELi3ELi3EEEEENS_17Default2DEpilogueINS_24Default2DEpilogueProblemIfDF16_Lb1ELb1ELb1EEEvEEEEJNSR_21FmhaFwdBatchModeKargsEEEENSt9enable_ifIXnt26kattr_no_packed_fp32_ops_vIT_EEvE4typeEDpT2_
                                        ; -- End function
	.section	.AMDGPU.csdata,"",@progbits
; Kernel info:
; codeLenInByte = 624
; NumSgprs: 78
; NumVgprs: 128
; NumAgprs: 128
; TotalNumVgprs: 256
; ScratchSize: 1648
; MemoryBound: 0
; FloatMode: 192
; IeeeMode: 1
; LDSByteSize: 31776 bytes/workgroup (compile time only)
; SGPRBlocks: 9
; VGPRBlocks: 31
; NumSGPRsForWavesPerEU: 78
; NumVGPRsForWavesPerEU: 256
; AccumOffset: 128
; Occupancy: 2
; WaveLimiterHint : 0
; COMPUTE_PGM_RSRC2:SCRATCH_EN: 1
; COMPUTE_PGM_RSRC2:USER_SGPR: 8
; COMPUTE_PGM_RSRC2:TRAP_HANDLER: 0
; COMPUTE_PGM_RSRC2:TGID_X_EN: 1
; COMPUTE_PGM_RSRC2:TGID_Y_EN: 1
; COMPUTE_PGM_RSRC2:TGID_Z_EN: 1
; COMPUTE_PGM_RSRC2:TIDIG_COMP_CNT: 0
; COMPUTE_PGM_RSRC3_GFX90A:ACCUM_OFFSET: 31
; COMPUTE_PGM_RSRC3_GFX90A:TG_SPLIT: 0
	.text
	.p2alignl 6, 3212836864
	.fill 256, 4, 3212836864
	.type	__hip_cuid_a4deecf948c78001,@object ; @__hip_cuid_a4deecf948c78001
	.section	.bss,"aw",@nobits
	.globl	__hip_cuid_a4deecf948c78001
__hip_cuid_a4deecf948c78001:
	.byte	0                               ; 0x0
	.size	__hip_cuid_a4deecf948c78001, 1

	.ident	"AMD clang version 19.0.0git (https://github.com/RadeonOpenCompute/llvm-project roc-6.4.0 25133 c7fe45cf4b819c5991fe208aaa96edf142730f1d)"
	.section	".note.GNU-stack","",@progbits
	.addrsig
	.addrsig_sym __hip_cuid_a4deecf948c78001
	.amdgpu_metadata
---
amdhsa.kernels:
  - .agpr_count:     0
    .args:           []
    .group_segment_fixed_size: 0
    .kernarg_segment_align: 4
    .kernarg_segment_size: 0
    .language:       OpenCL C
    .language_version:
      - 2
      - 0
    .max_flat_workgroup_size: 1024
    .name:           _ZN7ck_tileL11flush_cacheEv
    .private_segment_fixed_size: 0
    .sgpr_count:     4
    .sgpr_spill_count: 0
    .symbol:         _ZN7ck_tileL11flush_cacheEv.kd
    .uses_dynamic_stack: false
    .vgpr_count:     0
    .vgpr_spill_count: 0
    .wavefront_size: 64
  - .agpr_count:     128
    .args:
      - .offset:         0
        .size:           240
        .value_kind:     by_value
      - .offset:         240
        .size:           4
        .value_kind:     hidden_block_count_x
      - .offset:         244
        .size:           4
        .value_kind:     hidden_block_count_y
      - .offset:         248
        .size:           4
        .value_kind:     hidden_block_count_z
      - .offset:         252
        .size:           2
        .value_kind:     hidden_group_size_x
      - .offset:         254
        .size:           2
        .value_kind:     hidden_group_size_y
      - .offset:         256
        .size:           2
        .value_kind:     hidden_group_size_z
      - .offset:         258
        .size:           2
        .value_kind:     hidden_remainder_x
      - .offset:         260
        .size:           2
        .value_kind:     hidden_remainder_y
      - .offset:         262
        .size:           2
        .value_kind:     hidden_remainder_z
      - .offset:         280
        .size:           8
        .value_kind:     hidden_global_offset_x
      - .offset:         288
        .size:           8
        .value_kind:     hidden_global_offset_y
      - .offset:         296
        .size:           8
        .value_kind:     hidden_global_offset_z
      - .offset:         304
        .size:           2
        .value_kind:     hidden_grid_dims
    .group_segment_fixed_size: 31776
    .kernarg_segment_align: 8
    .kernarg_segment_size: 496
    .language:       OpenCL C
    .language_version:
      - 2
      - 0
    .max_flat_workgroup_size: 256
    .name:           _ZN7ck_tile6kentryINS_6gfx9_tELi2ENS_13FmhaFwdKernelINS_28BlockFmhaPipelineQRKSVSAsyncINS_24BlockFmhaPipelineProblemIDF16_DF16_DF16_ffDF16_hfDF16_fDF16_NS_13TileFmhaShapeINS_8sequenceIJLi128ELi128ELi32ELi128ELi32ELi128EEEENS6_IJLi4ELi1ELi1EEEENS6_IJLi32ELi32ELi16EEEES8_S9_Lb1EEELb0ENS_17ComposedAttentionILj4ELb1EEENS_30SimplifiedGenericAttentionMaskILb1EEELb0ENS_14TileFmhaTraitsILb1ELb0ELb1ELb1ELb1ELNS_22BlockAttentionBiasEnumE0ELb0ELb1ELb1ELNS_28BlockAttentionQuantScaleEnumE0ELin1ELb0ELb0EEEEENS_35BlockFmhaPipelineQXKSVSCustomPolicyILb1ELb1ELi3ELi3EEEEENS_17Default2DEpilogueINS_24Default2DEpilogueProblemIfDF16_Lb1ELb1ELb1EEEvEEEEJNSR_21FmhaFwdBatchModeKargsEEEENSt9enable_ifIXnt26kattr_no_packed_fp32_ops_vIT_EEvE4typeEDpT2_
    .private_segment_fixed_size: 1648
    .sgpr_count:     78
    .sgpr_spill_count: 0
    .symbol:         _ZN7ck_tile6kentryINS_6gfx9_tELi2ENS_13FmhaFwdKernelINS_28BlockFmhaPipelineQRKSVSAsyncINS_24BlockFmhaPipelineProblemIDF16_DF16_DF16_ffDF16_hfDF16_fDF16_NS_13TileFmhaShapeINS_8sequenceIJLi128ELi128ELi32ELi128ELi32ELi128EEEENS6_IJLi4ELi1ELi1EEEENS6_IJLi32ELi32ELi16EEEES8_S9_Lb1EEELb0ENS_17ComposedAttentionILj4ELb1EEENS_30SimplifiedGenericAttentionMaskILb1EEELb0ENS_14TileFmhaTraitsILb1ELb0ELb1ELb1ELb1ELNS_22BlockAttentionBiasEnumE0ELb0ELb1ELb1ELNS_28BlockAttentionQuantScaleEnumE0ELin1ELb0ELb0EEEEENS_35BlockFmhaPipelineQXKSVSCustomPolicyILb1ELb1ELi3ELi3EEEEENS_17Default2DEpilogueINS_24Default2DEpilogueProblemIfDF16_Lb1ELb1ELb1EEEvEEEEJNSR_21FmhaFwdBatchModeKargsEEEENSt9enable_ifIXnt26kattr_no_packed_fp32_ops_vIT_EEvE4typeEDpT2_.kd
    .uses_dynamic_stack: false
    .vgpr_count:     256
    .vgpr_spill_count: 0
    .wavefront_size: 64
amdhsa.target:   amdgcn-amd-amdhsa--gfx90a
amdhsa.version:
  - 1
  - 2
...

	.end_amdgpu_metadata
